;; amdgpu-corpus repo=ROCm/rocFFT kind=compiled arch=gfx950 opt=O3
	.text
	.amdgcn_target "amdgcn-amd-amdhsa--gfx950"
	.amdhsa_code_object_version 6
	.protected	bluestein_single_fwd_len1785_dim1_dp_op_CI_CI ; -- Begin function bluestein_single_fwd_len1785_dim1_dp_op_CI_CI
	.globl	bluestein_single_fwd_len1785_dim1_dp_op_CI_CI
	.p2align	8
	.type	bluestein_single_fwd_len1785_dim1_dp_op_CI_CI,@function
bluestein_single_fwd_len1785_dim1_dp_op_CI_CI: ; @bluestein_single_fwd_len1785_dim1_dp_op_CI_CI
; %bb.0:
	s_load_dwordx4 s[4:7], s[0:1], 0x28
	v_mul_u32_u24_e32 v1, 0x227, v0
	v_mov_b32_e32 v245, 0
	v_add_u32_sdwa v2, s2, v1 dst_sel:DWORD dst_unused:UNUSED_PAD src0_sel:DWORD src1_sel:WORD_1
	v_mov_b32_e32 v3, v245
	v_accvgpr_write_b32 a2, v2
	s_waitcnt lgkmcnt(0)
	v_cmp_gt_u64_e32 vcc, s[4:5], v[2:3]
	s_and_saveexec_b64 s[2:3], vcc
	s_cbranch_execz .LBB0_23
; %bb.1:
	s_load_dwordx2 s[12:13], s[0:1], 0x0
	s_load_dwordx2 s[14:15], s[0:1], 0x38
	s_movk_i32 s2, 0x77
	v_mul_lo_u16_sdwa v1, v1, s2 dst_sel:DWORD dst_unused:UNUSED_PAD src0_sel:WORD_1 src1_sel:DWORD
	v_sub_u16_e32 v244, v0, v1
	s_movk_i32 s2, 0x69
	v_cmp_gt_u16_e64 s[4:5], s2, v244
	v_lshlrev_b32_e32 v252, 4, v244
	s_and_saveexec_b64 s[2:3], s[4:5]
	s_cbranch_execz .LBB0_3
; %bb.2:
	s_load_dwordx2 s[8:9], s[0:1], 0x18
	v_accvgpr_read_b32 v10, a2
	v_mov_b32_e32 v0, s6
	v_mov_b32_e32 v1, s7
	;; [unrolled: 1-line block ×3, first 2 shown]
	s_waitcnt lgkmcnt(0)
	s_load_dwordx4 s[8:11], s[8:9], 0x0
	v_lshl_add_u64 v[128:129], s[12:13], 0, v[252:253]
	v_mov_b32_e32 v38, 0x690
	s_waitcnt lgkmcnt(0)
	v_mad_u64_u32 v[2:3], s[6:7], s10, v10, 0
	v_mad_u64_u32 v[4:5], s[6:7], s8, v244, 0
	v_mov_b32_e32 v6, v3
	v_mov_b32_e32 v8, v5
	v_mad_u64_u32 v[6:7], s[6:7], s11, v10, v[6:7]
	v_mov_b32_e32 v3, v6
	v_mad_u64_u32 v[6:7], s[6:7], s9, v244, v[8:9]
	s_movk_i32 s6, 0x1000
	s_nop 0
	v_add_co_u32_e32 v52, vcc, s6, v128
	s_movk_i32 s7, 0x2000
	s_nop 0
	v_addc_co_u32_e32 v53, vcc, 0, v129, vcc
	v_add_co_u32_e32 v54, vcc, s7, v128
	s_movk_i32 s10, 0x3000
	s_nop 0
	v_addc_co_u32_e32 v55, vcc, 0, v129, vcc
	v_mov_b32_e32 v5, v6
	v_lshl_add_u64 v[0:1], v[2:3], 4, v[0:1]
	v_add_co_u32_e32 v56, vcc, s10, v128
	v_lshl_add_u64 v[36:37], v[4:5], 4, v[0:1]
	s_movk_i32 s11, 0x4000
	v_addc_co_u32_e32 v57, vcc, 0, v129, vcc
	global_load_dwordx4 v[0:3], v[36:37], off
	global_load_dwordx4 v[4:7], v252, s[12:13]
	v_add_co_u32_e32 v108, vcc, s11, v128
	s_mul_i32 s6, s9, 0x690
	v_mad_u64_u32 v[36:37], s[10:11], s8, v38, v[36:37]
	v_add_u32_e32 v37, s6, v37
	v_mad_u64_u32 v[60:61], s[10:11], s8, v38, v[36:37]
	global_load_dwordx4 v[8:11], v252, s[12:13] offset:1680
	global_load_dwordx4 v[12:15], v252, s[12:13] offset:3360
	v_addc_co_u32_e32 v109, vcc, 0, v129, vcc
	global_load_dwordx4 v[40:43], v[52:53], off offset:944
	global_load_dwordx4 v[44:47], v[52:53], off offset:2624
	;; [unrolled: 1-line block ×8, first 2 shown]
	v_add_u32_e32 v61, s6, v61
	global_load_dwordx4 v[52:55], v[36:37], off
	global_load_dwordx4 v[56:59], v[60:61], off
	v_mad_u64_u32 v[36:37], s[10:11], s8, v38, v[60:61]
	v_add_u32_e32 v37, s6, v37
	v_mad_u64_u32 v[68:69], s[10:11], s8, v38, v[36:37]
	v_add_u32_e32 v69, s6, v69
	global_load_dwordx4 v[60:63], v[36:37], off
	global_load_dwordx4 v[64:67], v[68:69], off
	v_mad_u64_u32 v[36:37], s[10:11], s8, v38, v[68:69]
	v_add_u32_e32 v37, s6, v37
	global_load_dwordx4 v[68:71], v[36:37], off
	v_mad_u64_u32 v[36:37], s[10:11], s8, v38, v[36:37]
	v_add_u32_e32 v37, s6, v37
	;; [unrolled: 3-line block ×6, first 2 shown]
	v_mad_u64_u32 v[96:97], s[10:11], s8, v38, v[36:37]
	global_load_dwordx4 v[88:91], v[36:37], off
	v_add_u32_e32 v97, s6, v97
	v_mad_u64_u32 v[110:111], s[10:11], s8, v38, v[96:97]
	global_load_dwordx4 v[92:95], v[96:97], off
	v_add_u32_e32 v111, s6, v111
	global_load_dwordx4 v[96:99], v[110:111], off
	global_load_dwordx4 v[100:103], v[108:109], off offset:2096
	global_load_dwordx4 v[104:107], v[108:109], off offset:3776
	v_mad_u64_u32 v[112:113], s[10:11], s8, v38, v[110:111]
	v_add_u32_e32 v113, s6, v113
	s_movk_i32 s7, 0x5000
	v_add_co_u32_e32 v120, vcc, s7, v128
	v_mad_u64_u32 v[124:125], s[10:11], s8, v38, v[112:113]
	global_load_dwordx4 v[108:111], v[112:113], off
	v_addc_co_u32_e32 v121, vcc, 0, v129, vcc
	v_add_u32_e32 v125, s6, v125
	global_load_dwordx4 v[112:115], v[124:125], off
	global_load_dwordx4 v[116:119], v[120:121], off offset:1360
	s_nop 0
	global_load_dwordx4 v[120:123], v[120:121], off offset:3040
	s_movk_i32 s7, 0x6000
	v_mad_u64_u32 v[132:133], s[10:11], s8, v38, v[124:125]
	v_add_co_u32_e32 v136, vcc, s7, v128
	v_add_u32_e32 v133, s6, v133
	s_nop 0
	v_addc_co_u32_e32 v137, vcc, 0, v129, vcc
	global_load_dwordx4 v[124:127], v[132:133], off
	global_load_dwordx4 v[128:131], v[136:137], off offset:624
	v_mad_u64_u32 v[38:39], s[8:9], s8, v38, v[132:133]
	v_add_u32_e32 v39, s6, v39
	global_load_dwordx4 v[132:135], v[38:39], off
	s_nop 0
	global_load_dwordx4 v[136:139], v[136:137], off offset:2304
	s_waitcnt vmcnt(32)
	v_mul_f64 v[36:37], v[2:3], v[6:7]
	v_fmac_f64_e32 v[36:37], v[0:1], v[4:5]
	v_mul_f64 v[0:1], v[0:1], v[6:7]
	v_fma_f64 v[38:39], v[2:3], v[4:5], -v[0:1]
	ds_write_b128 v252, v[36:39]
	s_waitcnt vmcnt(21)
	v_mul_f64 v[0:1], v[54:55], v[10:11]
	v_mul_f64 v[2:3], v[52:53], v[10:11]
	v_fmac_f64_e32 v[0:1], v[52:53], v[8:9]
	v_fma_f64 v[2:3], v[54:55], v[8:9], -v[2:3]
	ds_write_b128 v252, v[0:3] offset:1680
	s_waitcnt vmcnt(20)
	v_mul_f64 v[0:1], v[58:59], v[14:15]
	v_mul_f64 v[2:3], v[56:57], v[14:15]
	v_fmac_f64_e32 v[0:1], v[56:57], v[12:13]
	v_fma_f64 v[2:3], v[58:59], v[12:13], -v[2:3]
	ds_write_b128 v252, v[0:3] offset:3360
	;; [unrolled: 6-line block ×16, first 2 shown]
.LBB0_3:
	s_or_b64 exec, exec, s[2:3]
	s_load_dwordx2 s[2:3], s[0:1], 0x20
	s_load_dwordx2 s[6:7], s[0:1], 0x8
	s_waitcnt lgkmcnt(0)
	s_barrier
	s_waitcnt lgkmcnt(0)
                                        ; implicit-def: $vgpr0_vgpr1
                                        ; implicit-def: $vgpr4_vgpr5
                                        ; implicit-def: $vgpr8_vgpr9
                                        ; implicit-def: $vgpr12_vgpr13
                                        ; implicit-def: $vgpr16_vgpr17
                                        ; implicit-def: $vgpr20_vgpr21
                                        ; implicit-def: $vgpr24_vgpr25
                                        ; implicit-def: $vgpr28_vgpr29
                                        ; implicit-def: $vgpr32_vgpr33
                                        ; implicit-def: $vgpr36_vgpr37
                                        ; implicit-def: $vgpr40_vgpr41
                                        ; implicit-def: $vgpr44_vgpr45
                                        ; implicit-def: $vgpr48_vgpr49
                                        ; implicit-def: $vgpr52_vgpr53
                                        ; implicit-def: $vgpr56_vgpr57
                                        ; implicit-def: $vgpr60_vgpr61
                                        ; implicit-def: $vgpr64_vgpr65
	s_and_saveexec_b64 s[0:1], s[4:5]
	s_cbranch_execz .LBB0_5
; %bb.4:
	ds_read_b128 v[0:3], v252
	ds_read_b128 v[4:7], v252 offset:1680
	ds_read_b128 v[8:11], v252 offset:3360
	;; [unrolled: 1-line block ×16, first 2 shown]
.LBB0_5:
	s_or_b64 exec, exec, s[0:1]
	s_mov_b32 s24, 0x5d8e7cdc
	s_waitcnt lgkmcnt(0)
	v_add_f64 v[112:113], v[6:7], -v[66:67]
	s_mov_b32 s0, 0x370991
	s_mov_b32 s25, 0xbfd71e95
	;; [unrolled: 1-line block ×3, first 2 shown]
	v_add_f64 v[138:139], v[4:5], v[64:65]
	v_add_f64 v[150:151], v[4:5], -v[64:65]
	s_mov_b32 s1, 0x3fedd6d0
	v_mul_f64 v[74:75], v[112:113], s[24:25]
	s_mov_b32 s10, 0x75d4884
	s_mov_b32 s39, 0xbfe58eea
	v_add_f64 v[114:115], v[10:11], -v[62:63]
	v_add_f64 v[146:147], v[6:7], v[66:67]
	v_mul_f64 v[76:77], v[150:151], s[24:25]
	v_fma_f64 v[68:69], s[0:1], v[138:139], v[74:75]
	s_mov_b32 s11, 0x3fe7a5f6
	v_add_f64 v[152:153], v[8:9], v[60:61]
	v_add_f64 v[166:167], v[8:9], -v[60:61]
	v_mul_f64 v[78:79], v[114:115], s[38:39]
	s_mov_b32 s34, 0x7c9e640b
	v_add_f64 v[68:69], v[0:1], v[68:69]
	v_fma_f64 v[70:71], v[146:147], s[0:1], -v[76:77]
	v_add_f64 v[158:159], v[10:11], v[62:63]
	v_mul_f64 v[80:81], v[166:167], s[38:39]
	v_fma_f64 v[72:73], s[10:11], v[152:153], v[78:79]
	v_add_f64 v[212:213], v[14:15], -v[58:59]
	s_mov_b32 s18, 0x2b2883cd
	s_mov_b32 s35, 0xbfeca52d
	v_add_f64 v[70:71], v[2:3], v[70:71]
	v_add_f64 v[68:69], v[72:73], v[68:69]
	v_fma_f64 v[72:73], v[158:159], s[10:11], -v[80:81]
	s_mov_b32 s30, 0xeb564b22
	v_add_f64 v[160:161], v[12:13], v[56:57]
	v_add_f64 v[182:183], v[12:13], -v[56:57]
	s_mov_b32 s19, 0x3fdc86fa
	v_mul_f64 v[82:83], v[212:213], s[34:35]
	v_add_f64 v[70:71], v[72:73], v[70:71]
	s_mov_b32 s16, 0x3259b75e
	s_mov_b32 s31, 0xbfefdd0d
	v_add_f64 v[162:163], v[14:15], v[58:59]
	v_mul_f64 v[84:85], v[182:183], s[34:35]
	v_fma_f64 v[72:73], s[18:19], v[160:161], v[82:83]
	v_add_f64 v[226:227], v[18:19], -v[54:55]
	s_mov_b32 s17, 0x3fb79ee6
	v_add_f64 v[68:69], v[72:73], v[68:69]
	v_fma_f64 v[72:73], v[162:163], s[18:19], -v[84:85]
	v_add_f64 v[168:169], v[16:17], v[52:53]
	v_add_f64 v[214:215], v[16:17], -v[52:53]
	v_mul_f64 v[132:133], v[226:227], s[30:31]
	s_mov_b32 s46, 0x923c349f
	v_add_f64 v[70:71], v[72:73], v[70:71]
	v_add_f64 v[170:171], v[18:19], v[54:55]
	v_mul_f64 v[134:135], v[214:215], s[30:31]
	v_fma_f64 v[72:73], s[16:17], v[168:169], v[132:133]
	v_add_f64 v[230:231], v[22:23], -v[50:51]
	s_mov_b32 s26, 0xc61f0d01
	s_mov_b32 s47, 0xbfeec746
	;; [unrolled: 1-line block ×3, first 2 shown]
	v_add_f64 v[68:69], v[72:73], v[68:69]
	v_fma_f64 v[72:73], v[170:171], s[16:17], -v[134:135]
	v_add_f64 v[172:173], v[20:21], v[48:49]
	v_add_f64 v[224:225], v[20:21], -v[48:49]
	s_mov_b32 s27, 0xbfd183b1
	v_mul_f64 v[136:137], v[230:231], s[46:47]
	s_mov_b32 s22, 0x6ed5f1bb
	s_mov_b32 s37, 0xbfe9895b
	v_add_f64 v[70:71], v[72:73], v[70:71]
	v_add_f64 v[174:175], v[22:23], v[50:51]
	v_mul_f64 v[140:141], v[224:225], s[46:47]
	v_fma_f64 v[72:73], s[26:27], v[172:173], v[136:137]
	v_add_f64 v[234:235], v[26:27], -v[46:47]
	s_mov_b32 s23, 0xbfe348c8
	v_add_f64 v[68:69], v[72:73], v[68:69]
	v_fma_f64 v[72:73], v[174:175], s[26:27], -v[140:141]
	s_mov_b32 s40, 0x4363dd80
	v_add_f64 v[184:185], v[24:25], v[44:45]
	v_add_f64 v[232:233], v[24:25], -v[44:45]
	v_mul_f64 v[142:143], v[234:235], s[36:37]
	v_add_f64 v[70:71], v[72:73], v[70:71]
	s_mov_b32 s28, 0x910ea3b9
	s_mov_b32 s41, 0x3fe0d888
	v_add_f64 v[186:187], v[26:27], v[46:47]
	v_mul_f64 v[144:145], v[232:233], s[36:37]
	v_fma_f64 v[72:73], s[22:23], v[184:185], v[142:143]
	v_add_f64 v[238:239], v[30:31], -v[42:43]
	s_mov_b32 s45, 0xbfe0d888
	s_mov_b32 s44, s40
	;; [unrolled: 1-line block ×4, first 2 shown]
	v_add_f64 v[68:69], v[72:73], v[68:69]
	v_fma_f64 v[72:73], v[186:187], s[22:23], -v[144:145]
	v_add_f64 v[188:189], v[28:29], v[40:41]
	v_add_f64 v[236:237], v[28:29], -v[40:41]
	v_mul_f64 v[148:149], v[238:239], s[44:45]
	s_mov_b32 s20, 0x7faef3
	s_mov_b32 s43, 0xbfc7851a
	v_add_f64 v[70:71], v[72:73], v[70:71]
	v_add_f64 v[190:191], v[30:31], v[42:43]
	v_mul_f64 v[154:155], v[236:237], s[44:45]
	v_fma_f64 v[72:73], s[28:29], v[188:189], v[148:149]
	v_add_f64 v[242:243], v[34:35], -v[38:39]
	s_mov_b32 s21, 0xbfef7484
	v_add_f64 v[68:69], v[72:73], v[68:69]
	v_fma_f64 v[72:73], v[190:191], s[28:29], -v[154:155]
	v_add_f64 v[196:197], v[32:33], v[36:37]
	v_mul_f64 v[156:157], v[242:243], s[42:43]
	v_add_f64 v[240:241], v[32:33], -v[36:37]
	v_add_f64 v[70:71], v[72:73], v[70:71]
	v_fma_f64 v[72:73], s[20:21], v[196:197], v[156:157]
	v_add_f64 v[204:205], v[34:35], v[38:39]
	v_mul_f64 v[164:165], v[240:241], s[42:43]
	v_add_f64 v[104:105], v[72:73], v[68:69]
	v_fma_f64 v[68:69], v[204:205], s[20:21], -v[164:165]
	v_mul_f64 v[176:177], v[112:113], s[38:39]
	v_add_f64 v[106:107], v[68:69], v[70:71]
	v_fma_f64 v[68:69], s[10:11], v[138:139], v[176:177]
	v_mul_f64 v[178:179], v[114:115], s[30:31]
	v_add_f64 v[68:69], v[0:1], v[68:69]
	v_fma_f64 v[70:71], s[16:17], v[152:153], v[178:179]
	v_mul_f64 v[194:195], v[150:151], s[38:39]
	v_add_f64 v[68:69], v[70:71], v[68:69]
	v_fma_f64 v[70:71], v[146:147], s[10:11], -v[194:195]
	v_mul_f64 v[198:199], v[166:167], s[30:31]
	v_add_f64 v[70:71], v[2:3], v[70:71]
	v_fma_f64 v[72:73], v[158:159], s[16:17], -v[198:199]
	v_mul_f64 v[180:181], v[212:213], s[36:37]
	v_add_f64 v[70:71], v[72:73], v[70:71]
	v_fma_f64 v[72:73], s[22:23], v[160:161], v[180:181]
	v_mul_f64 v[202:203], v[182:183], s[36:37]
	v_add_f64 v[68:69], v[72:73], v[68:69]
	v_fma_f64 v[72:73], v[162:163], s[22:23], -v[202:203]
	v_mul_f64 v[192:193], v[226:227], s[42:43]
	v_add_f64 v[70:71], v[72:73], v[70:71]
	v_fma_f64 v[72:73], s[20:21], v[168:169], v[192:193]
	v_mul_f64 v[208:209], v[214:215], s[42:43]
	v_add_f64 v[68:69], v[72:73], v[68:69]
	v_fma_f64 v[72:73], v[170:171], s[20:21], -v[208:209]
	v_mul_f64 v[200:201], v[230:231], s[40:41]
	v_add_f64 v[70:71], v[72:73], v[70:71]
	v_fma_f64 v[72:73], s[28:29], v[172:173], v[200:201]
	v_mul_f64 v[216:217], v[224:225], s[40:41]
	s_mov_b32 s49, 0x3feec746
	s_mov_b32 s48, s46
	v_add_f64 v[68:69], v[72:73], v[68:69]
	v_fma_f64 v[72:73], v[174:175], s[28:29], -v[216:217]
	v_mul_f64 v[206:207], v[234:235], s[48:49]
	v_add_f64 v[70:71], v[72:73], v[70:71]
	v_fma_f64 v[72:73], s[26:27], v[184:185], v[206:207]
	v_mul_f64 v[220:221], v[232:233], s[48:49]
	s_mov_b32 s53, 0x3feca52d
	s_mov_b32 s52, s34
	v_add_f64 v[68:69], v[72:73], v[68:69]
	v_fma_f64 v[72:73], v[186:187], s[26:27], -v[220:221]
	v_mul_f64 v[210:211], v[238:239], s[52:53]
	v_add_f64 v[70:71], v[72:73], v[70:71]
	v_fma_f64 v[72:73], s[18:19], v[188:189], v[210:211]
	;; [unrolled: 8-line block ×3, first 2 shown]
	v_mul_f64 v[228:229], v[240:241], s[50:51]
	v_add_f64 v[128:129], v[72:73], v[68:69]
	v_fma_f64 v[68:69], v[204:205], s[0:1], -v[228:229]
	v_add_f64 v[130:131], v[68:69], v[70:71]
	s_barrier
	s_mov_b64 s[8:9], exec
	v_accvgpr_write_b32 a0, v244
	s_and_b64 s[54:55], s[8:9], s[4:5]
	v_accvgpr_write_b32 a1, v245
	s_mov_b64 exec, s[54:55]
	s_cbranch_execz .LBB0_7
; %bb.6:
	v_mul_f64 v[96:97], v[146:147], s[20:21]
	s_mov_b32 s55, 0x3fc7851a
	s_mov_b32 s54, s42
	v_mul_f64 v[92:93], v[158:159], s[0:1]
	v_fma_f64 v[98:99], s[54:55], v[150:151], v[96:97]
	v_mul_f64 v[244:245], v[112:113], s[42:43]
	v_accvgpr_write_b32 a22, v84
	v_mul_f64 v[88:89], v[162:163], s[28:29]
	v_fma_f64 v[94:95], s[24:25], v[166:167], v[92:93]
	v_add_f64 v[98:99], v[2:3], v[98:99]
	v_mul_f64 v[108:109], v[114:115], s[50:51]
	v_fma_f64 v[246:247], s[20:21], v[138:139], v[244:245]
	v_accvgpr_write_b32 a20, v80
	v_accvgpr_write_b32 a23, v85
	v_mul_f64 v[84:85], v[170:171], s[10:11]
	v_fma_f64 v[90:91], s[40:41], v[182:183], v[88:89]
	v_add_f64 v[94:95], v[94:95], v[98:99]
	s_mov_b32 s57, 0x3fe58eea
	s_mov_b32 s56, s38
	v_mul_f64 v[102:103], v[212:213], s[44:45]
	v_fma_f64 v[110:111], s[0:1], v[152:153], v[108:109]
	v_add_f64 v[246:247], v[0:1], v[246:247]
	v_accvgpr_write_b32 a18, v76
	v_accvgpr_write_b32 a21, v81
	v_mul_f64 v[80:81], v[174:175], s[22:23]
	s_mov_b32 s59, 0x3fe9895b
	s_mov_b32 s58, s36
	v_accvgpr_write_b32 a16, v82
	v_fma_f64 v[86:87], s[38:39], v[214:215], v[84:85]
	v_add_f64 v[90:91], v[90:91], v[94:95]
	v_mul_f64 v[100:101], v[226:227], s[56:57]
	v_add_f64 v[110:111], v[110:111], v[246:247]
	v_fma_f64 v[246:247], s[28:29], v[160:161], v[102:103]
	v_accvgpr_write_b32 a8, v74
	v_accvgpr_write_b32 a19, v77
	v_mul_f64 v[76:77], v[186:187], s[18:19]
	v_accvgpr_write_b32 a14, v78
	v_accvgpr_write_b32 a17, v83
	v_fma_f64 v[82:83], s[58:59], v[224:225], v[80:81]
	v_add_f64 v[86:87], v[86:87], v[90:91]
	v_mul_f64 v[98:99], v[230:231], s[36:37]
	v_add_f64 v[110:111], v[246:247], v[110:111]
	v_fma_f64 v[246:247], s[10:11], v[168:169], v[100:101]
	v_accvgpr_write_b32 a9, v75
	v_mul_f64 v[74:75], v[190:191], s[26:27]
	v_accvgpr_write_b32 a15, v79
	v_fma_f64 v[78:79], s[34:35], v[232:233], v[76:77]
	v_add_f64 v[82:83], v[82:83], v[86:87]
	v_mul_f64 v[90:91], v[234:235], s[52:53]
	v_add_f64 v[110:111], v[246:247], v[110:111]
	v_fma_f64 v[246:247], s[22:23], v[172:173], v[98:99]
	v_mul_f64 v[72:73], v[204:205], s[16:17]
	v_fma_f64 v[70:71], s[48:49], v[236:237], v[74:75]
	v_add_f64 v[78:79], v[78:79], v[82:83]
	s_mov_b32 s61, 0x3fefdd0d
	s_mov_b32 s60, s30
	v_mul_f64 v[82:83], v[238:239], s[46:47]
	v_fma_f64 v[94:95], s[18:19], v[184:185], v[90:91]
	v_add_f64 v[110:111], v[246:247], v[110:111]
	v_fma_f64 v[68:69], s[30:31], v[240:241], v[72:73]
	v_add_f64 v[70:71], v[70:71], v[78:79]
	v_mul_f64 v[78:79], v[242:243], s[60:61]
	v_fma_f64 v[86:87], s[26:27], v[188:189], v[82:83]
	v_add_f64 v[94:95], v[94:95], v[110:111]
	v_add_f64 v[70:71], v[68:69], v[70:71]
	v_fma_f64 v[68:69], s[16:17], v[196:197], v[78:79]
	v_add_f64 v[86:87], v[86:87], v[94:95]
	v_fmac_f64_e32 v[96:97], s[42:43], v[150:151]
	v_add_f64 v[68:69], v[68:69], v[86:87]
	v_fmac_f64_e32 v[92:93], s[50:51], v[166:167]
	;; [unrolled: 2-line block ×7, first 2 shown]
	v_add_f64 v[76:77], v[76:77], v[80:81]
	v_fma_f64 v[86:87], v[152:153], s[0:1], -v[108:109]
	v_fma_f64 v[88:89], v[138:139], s[20:21], -v[244:245]
	v_mul_f64 v[108:109], v[146:147], s[28:29]
	v_add_f64 v[74:75], v[74:75], v[76:77]
	v_fma_f64 v[76:77], v[188:189], s[26:27], -v[82:83]
	v_fma_f64 v[82:83], v[168:169], s[10:11], -v[100:101]
	v_add_f64 v[88:89], v[0:1], v[88:89]
	v_mul_f64 v[100:101], v[158:159], s[18:19]
	v_fma_f64 v[110:111], s[40:41], v[150:151], v[108:109]
	v_fma_f64 v[84:85], v[160:161], s[28:29], -v[102:103]
	v_add_f64 v[86:87], v[86:87], v[88:89]
	v_mul_f64 v[96:97], v[162:163], s[16:17]
	v_fma_f64 v[102:103], s[34:35], v[166:167], v[100:101]
	v_add_f64 v[110:111], v[2:3], v[110:111]
	v_fma_f64 v[80:81], v[172:173], s[22:23], -v[98:99]
	v_add_f64 v[84:85], v[84:85], v[86:87]
	v_mul_f64 v[92:93], v[170:171], s[22:23]
	v_fma_f64 v[98:99], s[60:61], v[182:183], v[96:97]
	v_add_f64 v[102:103], v[102:103], v[110:111]
	v_accvgpr_write_b32 a4, v68
	v_fmac_f64_e32 v[72:73], s[60:61], v[240:241]
	v_add_f64 v[82:83], v[82:83], v[84:85]
	v_mul_f64 v[88:89], v[174:175], s[0:1]
	v_fma_f64 v[94:95], s[36:37], v[214:215], v[92:93]
	v_add_f64 v[98:99], v[98:99], v[102:103]
	v_accvgpr_write_b32 a5, v69
	v_accvgpr_write_b32 a6, v70
	;; [unrolled: 1-line block ×3, first 2 shown]
	v_add_f64 v[70:71], v[72:73], v[74:75]
	v_fma_f64 v[72:73], v[196:197], s[16:17], -v[78:79]
	v_fma_f64 v[78:79], v[184:185], s[18:19], -v[90:91]
	v_add_f64 v[80:81], v[80:81], v[82:83]
	v_mul_f64 v[84:85], v[186:187], s[20:21]
	v_fma_f64 v[90:91], s[50:51], v[224:225], v[88:89]
	v_add_f64 v[94:95], v[94:95], v[98:99]
	v_add_f64 v[78:79], v[78:79], v[80:81]
	v_mul_f64 v[82:83], v[190:191], s[10:11]
	v_fma_f64 v[86:87], s[54:55], v[232:233], v[84:85]
	v_add_f64 v[90:91], v[90:91], v[94:95]
	;; [unrolled: 4-line block ×3, first 2 shown]
	v_mul_f64 v[244:245], v[112:113], s[44:45]
	v_add_f64 v[68:69], v[72:73], v[76:77]
	v_fma_f64 v[76:77], s[48:49], v[240:241], v[80:81]
	v_add_f64 v[78:79], v[78:79], v[86:87]
	v_mul_f64 v[110:111], v[114:115], s[52:53]
	v_fma_f64 v[246:247], s[28:29], v[138:139], v[244:245]
	v_fmac_f64_e32 v[108:109], s[44:45], v[150:151]
	v_add_f64 v[78:79], v[76:77], v[78:79]
	v_mul_f64 v[102:103], v[212:213], s[30:31]
	v_fma_f64 v[76:77], s[18:19], v[152:153], v[110:111]
	v_add_f64 v[246:247], v[0:1], v[246:247]
	v_fmac_f64_e32 v[100:101], s[52:53], v[166:167]
	v_add_f64 v[108:109], v[2:3], v[108:109]
	v_mul_f64 v[98:99], v[226:227], s[58:59]
	v_add_f64 v[76:77], v[76:77], v[246:247]
	v_fma_f64 v[246:247], s[16:17], v[160:161], v[102:103]
	v_fmac_f64_e32 v[96:97], s[30:31], v[182:183]
	v_add_f64 v[100:101], v[100:101], v[108:109]
	v_mul_f64 v[94:95], v[230:231], s[24:25]
	v_add_f64 v[76:77], v[246:247], v[76:77]
	v_fma_f64 v[246:247], s[22:23], v[168:169], v[98:99]
	;; [unrolled: 5-line block ×4, first 2 shown]
	v_fmac_f64_e32 v[84:85], s[42:43], v[232:233]
	v_add_f64 v[88:89], v[88:89], v[92:93]
	v_add_f64 v[76:77], v[246:247], v[76:77]
	v_fma_f64 v[246:247], s[10:11], v[188:189], v[86:87]
	v_fmac_f64_e32 v[82:83], s[56:57], v[236:237]
	v_add_f64 v[84:85], v[84:85], v[88:89]
	v_fma_f64 v[96:97], v[138:139], s[28:29], -v[244:245]
	v_add_f64 v[76:77], v[246:247], v[76:77]
	v_mul_f64 v[246:247], v[242:243], s[46:47]
	v_fmac_f64_e32 v[80:81], s[46:47], v[240:241]
	v_add_f64 v[82:83], v[82:83], v[84:85]
	v_fma_f64 v[88:89], v[172:173], s[0:1], -v[94:95]
	v_fma_f64 v[94:95], v[152:153], s[18:19], -v[110:111]
	v_add_f64 v[96:97], v[0:1], v[96:97]
	v_mul_f64 v[244:245], v[146:147], s[22:23]
	v_fma_f64 v[248:249], s[26:27], v[196:197], v[246:247]
	v_add_f64 v[82:83], v[80:81], v[82:83]
	v_fma_f64 v[80:81], v[196:197], s[26:27], -v[246:247]
	v_fma_f64 v[92:93], v[160:161], s[16:17], -v[102:103]
	v_add_f64 v[94:95], v[94:95], v[96:97]
	v_mul_f64 v[108:109], v[158:159], s[26:27]
	v_fma_f64 v[246:247], s[58:59], v[150:151], v[244:245]
	v_fma_f64 v[84:85], v[188:189], s[10:11], -v[86:87]
	v_fma_f64 v[86:87], v[184:185], s[20:21], -v[90:91]
	v_fma_f64 v[90:91], v[168:169], s[22:23], -v[98:99]
	v_add_f64 v[92:93], v[92:93], v[94:95]
	v_mul_f64 v[100:101], v[162:163], s[0:1]
	v_fma_f64 v[110:111], s[46:47], v[166:167], v[108:109]
	v_add_f64 v[246:247], v[2:3], v[246:247]
	v_add_f64 v[90:91], v[90:91], v[92:93]
	v_mul_f64 v[96:97], v[170:171], s[28:29]
	v_fma_f64 v[102:103], s[50:51], v[182:183], v[100:101]
	v_add_f64 v[110:111], v[110:111], v[246:247]
	;; [unrolled: 4-line block ×5, first 2 shown]
	v_mul_f64 v[246:247], v[112:113], s[36:37]
	v_add_f64 v[76:77], v[248:249], v[76:77]
	v_add_f64 v[80:81], v[80:81], v[84:85]
	v_fma_f64 v[84:85], s[54:55], v[236:237], v[88:89]
	v_add_f64 v[86:87], v[86:87], v[94:95]
	v_mul_f64 v[110:111], v[114:115], s[48:49]
	v_fma_f64 v[248:249], s[22:23], v[138:139], v[246:247]
	v_add_f64 v[84:85], v[84:85], v[86:87]
	v_mul_f64 v[102:103], v[212:213], s[24:25]
	v_fma_f64 v[86:87], s[26:27], v[152:153], v[110:111]
	v_add_f64 v[248:249], v[0:1], v[248:249]
	v_mul_f64 v[98:99], v[226:227], s[44:45]
	v_add_f64 v[86:87], v[86:87], v[248:249]
	v_fma_f64 v[248:249], s[0:1], v[160:161], v[102:103]
	v_fmac_f64_e32 v[244:245], s[36:37], v[150:151]
	v_mul_f64 v[94:95], v[230:231], s[60:61]
	v_add_f64 v[86:87], v[248:249], v[86:87]
	v_fma_f64 v[248:249], s[28:29], v[168:169], v[98:99]
	v_fmac_f64_e32 v[108:109], s[48:49], v[166:167]
	v_add_f64 v[244:245], v[2:3], v[244:245]
	v_add_f64 v[86:87], v[248:249], v[86:87]
	v_fma_f64 v[248:249], s[16:17], v[172:173], v[94:95]
	v_add_f64 v[108:109], v[108:109], v[244:245]
	v_fmac_f64_e32 v[100:101], s[24:25], v[182:183]
	v_add_f64 v[86:87], v[248:249], v[86:87]
	v_mul_f64 v[248:249], v[234:235], s[38:39]
	v_add_f64 v[100:101], v[100:101], v[108:109]
	v_fmac_f64_e32 v[96:97], s[44:45], v[214:215]
	v_fma_f64 v[250:251], s[10:11], v[184:185], v[248:249]
	v_add_f64 v[96:97], v[96:97], v[100:101]
	v_fmac_f64_e32 v[92:93], s[60:61], v[224:225]
	v_add_f64 v[86:87], v[250:251], v[86:87]
	v_mul_f64 v[250:251], v[238:239], s[42:43]
	v_fmac_f64_e32 v[90:91], s[38:39], v[232:233]
	v_add_f64 v[92:93], v[92:93], v[96:97]
	v_fma_f64 v[254:255], s[20:21], v[188:189], v[250:251]
	v_mul_f64 v[116:117], v[204:205], s[18:19]
	v_fmac_f64_e32 v[88:89], s[42:43], v[236:237]
	v_add_f64 v[90:91], v[90:91], v[92:93]
	v_add_f64 v[254:255], v[254:255], v[86:87]
	v_fma_f64 v[86:87], s[34:35], v[240:241], v[116:117]
	v_mul_f64 v[118:119], v[242:243], s[52:53]
	v_fmac_f64_e32 v[116:117], s[52:53], v[240:241]
	v_add_f64 v[88:89], v[88:89], v[90:91]
	v_fma_f64 v[108:109], v[138:139], s[22:23], -v[246:247]
	v_add_f64 v[86:87], v[86:87], v[84:85]
	v_fma_f64 v[84:85], s[18:19], v[196:197], v[118:119]
	v_add_f64 v[90:91], v[116:117], v[88:89]
	v_fma_f64 v[88:89], v[196:197], s[18:19], -v[118:119]
	v_fma_f64 v[100:101], v[160:161], s[0:1], -v[102:103]
	;; [unrolled: 1-line block ×3, first 2 shown]
	v_add_f64 v[108:109], v[0:1], v[108:109]
	v_mul_f64 v[118:119], v[146:147], s[26:27]
	v_add_f64 v[102:103], v[102:103], v[108:109]
	v_mul_f64 v[110:111], v[158:159], s[28:29]
	v_fma_f64 v[244:245], s[48:49], v[150:151], v[118:119]
	v_fma_f64 v[98:99], v[168:169], s[28:29], -v[98:99]
	v_add_f64 v[100:101], v[100:101], v[102:103]
	v_mul_f64 v[108:109], v[162:163], s[10:11]
	v_fma_f64 v[116:117], s[44:45], v[166:167], v[110:111]
	v_add_f64 v[244:245], v[2:3], v[244:245]
	v_fma_f64 v[94:95], v[172:173], s[16:17], -v[94:95]
	v_add_f64 v[98:99], v[98:99], v[100:101]
	v_mul_f64 v[102:103], v[170:171], s[18:19]
	v_add_f64 v[116:117], v[116:117], v[244:245]
	v_fma_f64 v[244:245], s[38:39], v[182:183], v[108:109]
	v_fma_f64 v[96:97], v[184:185], s[10:11], -v[248:249]
	v_add_f64 v[94:95], v[94:95], v[98:99]
	v_mul_f64 v[100:101], v[174:175], s[20:21]
	v_add_f64 v[116:117], v[244:245], v[116:117]
	v_fma_f64 v[244:245], s[52:53], v[214:215], v[102:103]
	;; [unrolled: 5-line block ×3, first 2 shown]
	v_add_f64 v[92:93], v[92:93], v[94:95]
	v_mul_f64 v[96:97], v[190:191], s[0:1]
	v_fma_f64 v[94:95], s[30:31], v[232:233], v[98:99]
	v_add_f64 v[116:117], v[244:245], v[116:117]
	v_add_f64 v[88:89], v[88:89], v[92:93]
	v_fma_f64 v[92:93], s[50:51], v[236:237], v[96:97]
	v_add_f64 v[94:95], v[94:95], v[116:117]
	v_mul_f64 v[244:245], v[112:113], s[46:47]
	v_add_f64 v[92:93], v[92:93], v[94:95]
	v_mul_f64 v[116:117], v[114:115], s[40:41]
	v_fma_f64 v[94:95], s[26:27], v[138:139], v[244:245]
	v_add_f64 v[94:95], v[0:1], v[94:95]
	v_fma_f64 v[246:247], s[28:29], v[152:153], v[116:117]
	v_add_f64 v[94:95], v[246:247], v[94:95]
	v_mul_f64 v[246:247], v[212:213], s[56:57]
	v_fma_f64 v[248:249], s[10:11], v[160:161], v[246:247]
	v_add_f64 v[94:95], v[248:249], v[94:95]
	v_mul_f64 v[248:249], v[226:227], s[34:35]
	;; [unrolled: 3-line block ×3, first 2 shown]
	v_add_f64 v[84:85], v[84:85], v[254:255]
	v_fma_f64 v[254:255], s[20:21], v[172:173], v[250:251]
	v_accvgpr_write_b32 a10, v68
	v_add_f64 v[94:95], v[254:255], v[94:95]
	v_mul_f64 v[254:255], v[234:235], s[60:61]
	v_accvgpr_write_b32 a11, v69
	v_accvgpr_write_b32 a12, v70
	;; [unrolled: 1-line block ×3, first 2 shown]
	v_fma_f64 v[68:69], s[16:17], v[184:185], v[254:255]
	v_mul_f64 v[70:71], v[238:239], s[24:25]
	v_add_f64 v[68:69], v[68:69], v[94:95]
	v_fma_f64 v[94:95], s[0:1], v[188:189], v[70:71]
	v_mul_f64 v[120:121], v[204:205], s[22:23]
	v_add_f64 v[68:69], v[94:95], v[68:69]
	;; [unrolled: 3-line block ×3, first 2 shown]
	v_fma_f64 v[92:93], s[22:23], v[196:197], v[122:123]
	v_fmac_f64_e32 v[118:119], s[46:47], v[150:151]
	v_add_f64 v[92:93], v[92:93], v[68:69]
	v_fmac_f64_e32 v[110:111], s[40:41], v[166:167]
	v_add_f64 v[68:69], v[2:3], v[118:119]
	v_add_f64 v[68:69], v[110:111], v[68:69]
	v_fmac_f64_e32 v[108:109], s[56:57], v[182:183]
	v_add_f64 v[68:69], v[108:109], v[68:69]
	v_fmac_f64_e32 v[102:103], s[34:35], v[214:215]
	v_add_f64 v[68:69], v[102:103], v[68:69]
	v_fmac_f64_e32 v[100:101], s[42:43], v[224:225]
	v_add_f64 v[68:69], v[100:101], v[68:69]
	v_fmac_f64_e32 v[98:99], s[60:61], v[232:233]
	v_add_f64 v[68:69], v[98:99], v[68:69]
	v_fmac_f64_e32 v[96:97], s[24:25], v[236:237]
	v_fma_f64 v[98:99], v[138:139], s[26:27], -v[244:245]
	v_add_f64 v[68:69], v[96:97], v[68:69]
	v_fma_f64 v[96:97], v[152:153], s[28:29], -v[116:117]
	v_add_f64 v[98:99], v[0:1], v[98:99]
	v_add_f64 v[96:97], v[96:97], v[98:99]
	v_fma_f64 v[110:111], v[160:161], s[10:11], -v[246:247]
	v_fma_f64 v[108:109], v[168:169], s[18:19], -v[248:249]
	v_add_f64 v[96:97], v[110:111], v[96:97]
	v_fma_f64 v[102:103], v[172:173], s[20:21], -v[250:251]
	v_add_f64 v[96:97], v[108:109], v[96:97]
	;; [unrolled: 2-line block ×3, first 2 shown]
	v_mul_f64 v[116:117], v[146:147], s[16:17]
	v_fmac_f64_e32 v[120:121], s[36:37], v[240:241]
	v_fma_f64 v[70:71], v[188:189], s[0:1], -v[70:71]
	v_add_f64 v[96:97], v[100:101], v[96:97]
	v_mul_f64 v[110:111], v[158:159], s[20:21]
	v_fma_f64 v[102:103], s[60:61], v[150:151], v[116:117]
	v_add_f64 v[98:99], v[120:121], v[68:69]
	v_fma_f64 v[68:69], v[196:197], s[22:23], -v[122:123]
	v_add_f64 v[70:71], v[70:71], v[96:97]
	v_mul_f64 v[108:109], v[162:163], s[26:27]
	v_fma_f64 v[100:101], s[54:55], v[166:167], v[110:111]
	v_add_f64 v[102:103], v[2:3], v[102:103]
	v_add_f64 v[96:97], v[68:69], v[70:71]
	v_mul_f64 v[70:71], v[170:171], s[0:1]
	v_add_f64 v[100:101], v[100:101], v[102:103]
	v_fma_f64 v[102:103], s[46:47], v[182:183], v[108:109]
	v_mul_f64 v[68:69], v[174:175], s[18:19]
	v_add_f64 v[100:101], v[102:103], v[100:101]
	v_fma_f64 v[102:103], s[24:25], v[214:215], v[70:71]
	v_add_f64 v[100:101], v[102:103], v[100:101]
	v_fma_f64 v[102:103], s[52:53], v[224:225], v[68:69]
	v_mul_f64 v[118:119], v[186:187], s[28:29]
	v_add_f64 v[100:101], v[102:103], v[100:101]
	v_fma_f64 v[102:103], s[40:41], v[232:233], v[118:119]
	v_mul_f64 v[120:121], v[190:191], s[22:23]
	v_add_f64 v[100:101], v[102:103], v[100:101]
	v_fma_f64 v[102:103], s[36:37], v[236:237], v[120:121]
	v_mul_f64 v[122:123], v[112:113], s[30:31]
	v_add_f64 v[100:101], v[102:103], v[100:101]
	v_fma_f64 v[102:103], s[16:17], v[138:139], v[122:123]
	v_mul_f64 v[244:245], v[114:115], s[42:43]
	v_add_f64 v[102:103], v[0:1], v[102:103]
	v_fma_f64 v[246:247], s[20:21], v[152:153], v[244:245]
	v_add_f64 v[102:103], v[246:247], v[102:103]
	v_mul_f64 v[246:247], v[212:213], s[48:49]
	v_fma_f64 v[248:249], s[26:27], v[160:161], v[246:247]
	v_add_f64 v[102:103], v[248:249], v[102:103]
	v_mul_f64 v[248:249], v[226:227], s[50:51]
	;; [unrolled: 3-line block ×4, first 2 shown]
	v_fma_f64 v[72:73], s[28:29], v[184:185], v[254:255]
	v_mul_f64 v[74:75], v[238:239], s[58:59]
	v_add_f64 v[72:73], v[72:73], v[102:103]
	v_fma_f64 v[102:103], s[22:23], v[188:189], v[74:75]
	v_mul_f64 v[124:125], v[204:205], s[10:11]
	v_add_f64 v[72:73], v[102:103], v[72:73]
	;; [unrolled: 3-line block ×3, first 2 shown]
	v_fma_f64 v[100:101], s[10:11], v[196:197], v[126:127]
	v_fmac_f64_e32 v[116:117], s[30:31], v[150:151]
	v_add_f64 v[100:101], v[100:101], v[72:73]
	v_fmac_f64_e32 v[110:111], s[42:43], v[166:167]
	v_add_f64 v[72:73], v[2:3], v[116:117]
	v_add_f64 v[72:73], v[110:111], v[72:73]
	v_fmac_f64_e32 v[108:109], s[48:49], v[182:183]
	v_add_f64 v[72:73], v[108:109], v[72:73]
	v_fmac_f64_e32 v[70:71], s[50:51], v[214:215]
	;; [unrolled: 2-line block ×3, first 2 shown]
	v_fma_f64 v[72:73], v[138:139], s[16:17], -v[122:123]
	v_add_f64 v[68:69], v[68:69], v[70:71]
	v_fma_f64 v[70:71], v[152:153], s[20:21], -v[244:245]
	v_add_f64 v[72:73], v[0:1], v[72:73]
	v_add_f64 v[70:71], v[70:71], v[72:73]
	v_fma_f64 v[72:73], v[160:161], s[26:27], -v[246:247]
	v_add_f64 v[70:71], v[72:73], v[70:71]
	v_fma_f64 v[72:73], v[168:169], s[0:1], -v[248:249]
	v_fmac_f64_e32 v[118:119], s[44:45], v[232:233]
	v_add_f64 v[70:71], v[72:73], v[70:71]
	v_fma_f64 v[72:73], v[172:173], s[18:19], -v[250:251]
	v_add_f64 v[68:69], v[118:119], v[68:69]
	v_fmac_f64_e32 v[120:121], s[58:59], v[236:237]
	v_add_f64 v[70:71], v[72:73], v[70:71]
	v_fma_f64 v[72:73], v[184:185], s[28:29], -v[254:255]
	v_add_f64 v[68:69], v[120:121], v[68:69]
	v_add_f64 v[70:71], v[72:73], v[70:71]
	v_fmac_f64_e32 v[124:125], s[56:57], v[240:241]
	v_fma_f64 v[72:73], v[188:189], s[22:23], -v[74:75]
	v_add_f64 v[110:111], v[124:125], v[68:69]
	v_fma_f64 v[68:69], v[196:197], s[10:11], -v[126:127]
	v_add_f64 v[70:71], v[72:73], v[70:71]
	v_add_f64 v[108:109], v[68:69], v[70:71]
	v_mul_f64 v[70:71], v[146:147], s[18:19]
	v_mul_f64 v[68:69], v[158:159], s[22:23]
	v_fma_f64 v[72:73], s[52:53], v[150:151], v[70:71]
	v_add_f64 v[72:73], v[2:3], v[72:73]
	v_fma_f64 v[74:75], s[58:59], v[166:167], v[68:69]
	v_add_f64 v[72:73], v[74:75], v[72:73]
	v_mul_f64 v[74:75], v[162:163], s[20:21]
	v_fma_f64 v[116:117], s[42:43], v[182:183], v[74:75]
	v_add_f64 v[72:73], v[116:117], v[72:73]
	v_mul_f64 v[116:117], v[170:171], s[26:27]
	;; [unrolled: 3-line block ×5, first 2 shown]
	v_fma_f64 v[124:125], s[60:61], v[236:237], v[122:123]
	v_mul_f64 v[126:127], v[112:113], s[34:35]
	v_fmac_f64_e32 v[70:71], s[34:35], v[150:151]
	v_add_f64 v[72:73], v[124:125], v[72:73]
	v_mul_f64 v[124:125], v[114:115], s[36:37]
	v_fma_f64 v[112:113], s[18:19], v[138:139], v[126:127]
	v_fmac_f64_e32 v[68:69], s[36:37], v[166:167]
	v_add_f64 v[70:71], v[2:3], v[70:71]
	v_add_f64 v[112:113], v[0:1], v[112:113]
	v_fma_f64 v[114:115], s[22:23], v[152:153], v[124:125]
	v_mul_f64 v[212:213], v[212:213], s[54:55]
	v_fmac_f64_e32 v[74:75], s[54:55], v[182:183]
	v_add_f64 v[68:69], v[68:69], v[70:71]
	v_add_f64 v[112:113], v[114:115], v[112:113]
	v_fma_f64 v[114:115], s[20:21], v[160:161], v[212:213]
	v_mul_f64 v[226:227], v[226:227], s[48:49]
	v_fmac_f64_e32 v[116:117], s[48:49], v[214:215]
	v_add_f64 v[68:69], v[74:75], v[68:69]
	v_fma_f64 v[126:127], v[138:139], s[18:19], -v[126:127]
	v_add_f64 v[112:113], v[114:115], v[112:113]
	v_fma_f64 v[114:115], s[26:27], v[168:169], v[226:227]
	v_mul_f64 v[230:231], v[230:231], s[56:57]
	v_fmac_f64_e32 v[118:119], s[56:57], v[224:225]
	v_add_f64 v[68:69], v[116:117], v[68:69]
	v_fma_f64 v[124:125], v[152:153], s[22:23], -v[124:125]
	v_add_f64 v[126:127], v[0:1], v[126:127]
	v_add_f64 v[112:113], v[114:115], v[112:113]
	v_fma_f64 v[114:115], s[10:11], v[172:173], v[230:231]
	v_mul_f64 v[234:235], v[234:235], s[24:25]
	v_fmac_f64_e32 v[120:121], s[24:25], v[232:233]
	v_mul_f64 v[70:71], v[146:147], s[0:1]
	v_mul_f64 v[146:147], v[146:147], s[10:11]
	v_add_f64 v[68:69], v[118:119], v[68:69]
	v_fma_f64 v[150:151], v[160:161], s[20:21], -v[212:213]
	v_add_f64 v[124:125], v[124:125], v[126:127]
	v_add_f64 v[112:113], v[114:115], v[112:113]
	v_fma_f64 v[114:115], s[0:1], v[184:185], v[234:235]
	v_mul_f64 v[238:239], v[238:239], s[30:31]
	v_fmac_f64_e32 v[122:123], s[30:31], v[236:237]
	v_mul_f64 v[116:117], v[152:153], s[10:11]
	v_mul_f64 v[118:119], v[158:159], s[10:11]
	v_add_f64 v[68:69], v[120:121], v[68:69]
	v_mul_f64 v[120:121], v[152:153], s[16:17]
	v_mul_f64 v[158:159], v[158:159], s[16:17]
	v_fma_f64 v[152:153], v[168:169], s[26:27], -v[226:227]
	v_add_f64 v[124:125], v[150:151], v[124:125]
	v_add_f64 v[146:147], v[194:195], v[146:147]
	;; [unrolled: 1-line block ×3, first 2 shown]
	v_fma_f64 v[114:115], s[16:17], v[188:189], v[238:239]
	v_mul_f64 v[244:245], v[204:205], s[28:29]
	v_mul_f64 v[74:75], v[138:139], s[10:11]
	v_add_f64 v[68:69], v[122:123], v[68:69]
	v_mul_f64 v[122:123], v[160:161], s[18:19]
	v_mul_f64 v[212:213], v[160:161], s[22:23]
	;; [unrolled: 1-line block ×3, first 2 shown]
	v_add_f64 v[124:125], v[152:153], v[124:125]
	v_fma_f64 v[150:151], v[172:173], s[10:11], -v[230:231]
	v_add_f64 v[158:159], v[198:199], v[158:159]
	v_add_f64 v[146:147], v[2:3], v[146:147]
	;; [unrolled: 1-line block ×3, first 2 shown]
	v_fma_f64 v[114:115], s[40:41], v[240:241], v[244:245]
	v_mul_f64 v[166:167], v[138:139], s[0:1]
	v_mul_f64 v[182:183], v[162:163], s[18:19]
	;; [unrolled: 1-line block ×5, first 2 shown]
	v_add_f64 v[124:125], v[150:151], v[124:125]
	v_fma_f64 v[150:151], v[184:185], s[0:1], -v[234:235]
	v_add_f64 v[160:161], v[202:203], v[160:161]
	v_add_f64 v[146:147], v[158:159], v[146:147]
	v_add_f64 v[74:75], v[74:75], -v[176:177]
	v_add_f64 v[114:115], v[114:115], v[72:73]
	v_mul_f64 v[72:73], v[242:243], s[44:45]
	v_fmac_f64_e32 v[244:245], s[44:45], v[240:241]
	v_mul_f64 v[214:215], v[174:175], s[26:27]
	v_mul_f64 v[174:175], v[174:175], s[28:29]
	v_add_f64 v[124:125], v[150:151], v[124:125]
	v_fma_f64 v[150:151], v[188:189], s[16:17], -v[238:239]
	v_add_f64 v[168:169], v[208:209], v[168:169]
	v_add_f64 v[146:147], v[160:161], v[146:147]
	v_add_f64 v[120:121], v[120:121], -v[178:179]
	v_add_f64 v[74:75], v[0:1], v[74:75]
	v_mul_f64 v[226:227], v[186:187], s[22:23]
	v_mul_f64 v[186:187], v[186:187], s[26:27]
	v_add_f64 v[124:125], v[150:151], v[124:125]
	v_add_f64 v[152:153], v[244:245], v[68:69]
	v_fma_f64 v[68:69], v[196:197], s[28:29], -v[72:73]
	v_add_f64 v[174:175], v[216:217], v[174:175]
	v_add_f64 v[146:147], v[168:169], v[146:147]
	v_add_f64 v[168:169], v[212:213], -v[180:181]
	v_add_f64 v[74:75], v[120:121], v[74:75]
	v_mul_f64 v[126:127], v[170:171], s[16:17]
	v_mul_f64 v[170:171], v[172:173], s[26:27]
	;; [unrolled: 1-line block ×3, first 2 shown]
	v_add_f64 v[150:151], v[68:69], v[124:125]
	v_mul_f64 v[124:125], v[190:191], s[18:19]
	v_add_f64 v[186:187], v[220:221], v[186:187]
	v_add_f64 v[146:147], v[174:175], v[146:147]
	v_add_f64 v[162:163], v[162:163], -v[192:193]
	v_add_f64 v[74:75], v[168:169], v[74:75]
	v_mul_f64 v[224:225], v[184:185], s[22:23]
	v_mul_f64 v[184:185], v[184:185], s[26:27]
	v_add_f64 v[124:125], v[222:223], v[124:125]
	v_add_f64 v[146:147], v[186:187], v[146:147]
	v_add_f64 v[158:159], v[172:173], -v[200:201]
	v_add_f64 v[74:75], v[162:163], v[74:75]
	v_fma_f64 v[242:243], s[28:29], v[196:197], v[72:73]
	v_mul_f64 v[230:231], v[188:189], s[28:29]
	v_mul_f64 v[72:73], v[188:189], s[18:19]
	v_mul_f64 v[188:189], v[204:205], s[0:1]
	v_add_f64 v[124:125], v[124:125], v[146:147]
	v_add_f64 v[146:147], v[184:185], -v[206:207]
	v_add_f64 v[74:75], v[158:159], v[74:75]
	v_mul_f64 v[68:69], v[190:191], s[28:29]
	v_add_f64 v[188:189], v[228:229], v[188:189]
	v_mul_f64 v[190:191], v[196:197], s[20:21]
	v_mul_f64 v[196:197], v[196:197], s[0:1]
	v_add_f64 v[72:73], v[72:73], -v[210:211]
	v_add_f64 v[74:75], v[146:147], v[74:75]
	v_add_f64 v[160:161], v[188:189], v[124:125]
	v_add_f64 v[124:125], v[196:197], -v[218:219]
	v_add_f64 v[72:73], v[72:73], v[74:75]
	v_add_f64 v[158:159], v[124:125], v[72:73]
	;; [unrolled: 1-line block ×3, first 2 shown]
	v_accvgpr_read_b32 v135, a21
	v_accvgpr_read_b32 v134, a20
	v_add_f64 v[118:119], v[134:135], v[118:119]
	v_accvgpr_read_b32 v135, a19
	v_accvgpr_read_b32 v134, a18
	v_accvgpr_read_b32 v127, a23
	v_add_f64 v[70:71], v[134:135], v[70:71]
	v_accvgpr_read_b32 v126, a22
	v_add_f64 v[70:71], v[2:3], v[70:71]
	v_add_f64 v[126:127], v[126:127], v[182:183]
	;; [unrolled: 1-line block ×5, first 2 shown]
	v_accvgpr_read_b32 v125, a17
	v_accvgpr_read_b32 v124, a16
	v_add_f64 v[122:123], v[122:123], -v[124:125]
	v_accvgpr_read_b32 v125, a15
	v_accvgpr_read_b32 v124, a14
	v_add_f64 v[116:117], v[116:117], -v[124:125]
	;; [unrolled: 3-line block ×3, first 2 shown]
	v_add_f64 v[124:125], v[0:1], v[124:125]
	v_add_f64 v[2:3], v[2:3], v[6:7]
	v_add_f64 v[0:1], v[0:1], v[4:5]
	v_add_f64 v[2:3], v[2:3], v[10:11]
	v_add_f64 v[0:1], v[0:1], v[8:9]
	v_add_f64 v[2:3], v[2:3], v[14:15]
	v_add_f64 v[0:1], v[0:1], v[12:13]
	v_add_f64 v[2:3], v[2:3], v[18:19]
	v_add_f64 v[0:1], v[0:1], v[16:17]
	v_add_f64 v[2:3], v[2:3], v[22:23]
	v_add_f64 v[0:1], v[0:1], v[20:21]
	v_add_f64 v[2:3], v[2:3], v[26:27]
	v_add_f64 v[0:1], v[0:1], v[24:25]
	v_add_f64 v[2:3], v[2:3], v[30:31]
	v_add_f64 v[0:1], v[0:1], v[28:29]
	v_add_f64 v[2:3], v[2:3], v[34:35]
	v_add_f64 v[0:1], v[0:1], v[32:33]
	v_add_f64 v[2:3], v[2:3], v[38:39]
	v_add_f64 v[0:1], v[0:1], v[36:37]
	v_add_f64 v[120:121], v[140:141], v[214:215]
	v_add_f64 v[2:3], v[2:3], v[42:43]
	v_add_f64 v[0:1], v[0:1], v[40:41]
	v_add_f64 v[74:75], v[144:145], v[226:227]
	v_add_f64 v[70:71], v[120:121], v[70:71]
	v_add_f64 v[116:117], v[116:117], v[124:125]
	v_add_f64 v[2:3], v[2:3], v[46:47]
	v_add_f64 v[0:1], v[0:1], v[44:45]
	v_mul_f64 v[204:205], v[204:205], s[20:21]
	v_add_f64 v[68:69], v[154:155], v[68:69]
	v_add_f64 v[70:71], v[74:75], v[70:71]
	v_add_f64 v[120:121], v[138:139], -v[132:133]
	v_add_f64 v[116:117], v[122:123], v[116:117]
	v_add_f64 v[2:3], v[2:3], v[50:51]
	;; [unrolled: 1-line block ×3, first 2 shown]
	v_accvgpr_read_b32 v245, a1
	v_add_f64 v[72:73], v[164:165], v[204:205]
	v_add_f64 v[68:69], v[68:69], v[70:71]
	v_add_f64 v[74:75], v[170:171], -v[136:137]
	v_add_f64 v[116:117], v[120:121], v[116:117]
	v_add_f64 v[2:3], v[2:3], v[54:55]
	;; [unrolled: 1-line block ×3, first 2 shown]
	v_accvgpr_read_b32 v244, a0
	v_add_f64 v[118:119], v[72:73], v[68:69]
	v_add_f64 v[72:73], v[224:225], -v[142:143]
	v_add_f64 v[74:75], v[74:75], v[116:117]
	v_add_f64 v[2:3], v[2:3], v[58:59]
	;; [unrolled: 1-line block ×3, first 2 shown]
	v_add_f64 v[70:71], v[230:231], -v[148:149]
	v_add_f64 v[72:73], v[72:73], v[74:75]
	v_add_f64 v[2:3], v[2:3], v[62:63]
	;; [unrolled: 1-line block ×3, first 2 shown]
	v_mul_lo_u16_e32 v4, 17, v244
	v_add_f64 v[68:69], v[190:191], -v[156:157]
	v_add_f64 v[70:71], v[70:71], v[72:73]
	v_add_f64 v[2:3], v[2:3], v[66:67]
	;; [unrolled: 1-line block ×3, first 2 shown]
	v_lshlrev_b32_e32 v4, 4, v4
	v_add_f64 v[112:113], v[242:243], v[112:113]
	v_add_f64 v[116:117], v[68:69], v[70:71]
	ds_write_b128 v4, v[0:3]
	ds_write_b128 v4, v[116:119] offset:16
	ds_write_b128 v4, v[158:161] offset:32
	ds_write_b128 v4, v[150:153] offset:48
	ds_write_b128 v4, v[108:111] offset:64
	ds_write_b128 v4, v[96:99] offset:80
	ds_write_b128 v4, v[88:91] offset:96
	ds_write_b128 v4, v[80:83] offset:112
	ds_write_b128 v4, a[10:13] offset:128
	ds_write_b128 v4, a[4:7] offset:144
	ds_write_b128 v4, v[76:79] offset:160
	ds_write_b128 v4, v[84:87] offset:176
	ds_write_b128 v4, v[92:95] offset:192
	ds_write_b128 v4, v[100:103] offset:208
	ds_write_b128 v4, v[112:115] offset:224
	ds_write_b128 v4, v[128:131] offset:240
	ds_write_b128 v4, v[104:107] offset:256
.LBB0_7:
	s_or_b64 exec, exec, s[8:9]
	s_load_dwordx4 s[8:11], s[2:3], 0x0
	s_movk_i32 s2, 0xf1
	v_mul_lo_u16_sdwa v0, v244, s2 dst_sel:DWORD dst_unused:UNUSED_PAD src0_sel:BYTE_0 src1_sel:DWORD
	v_lshrrev_b16_e32 v1, 12, v0
	v_mul_lo_u16_e32 v0, 17, v1
	v_sub_u16_e32 v0, v244, v0
	v_and_b32_e32 v61, 0xff, v0
	v_lshlrev_b32_e32 v0, 5, v61
	s_waitcnt lgkmcnt(0)
	s_barrier
	global_load_dwordx4 v[80:83], v0, s[6:7] offset:16
	global_load_dwordx4 v[84:87], v0, s[6:7]
	v_add_u16_e32 v0, 0x77, v244
	v_mul_lo_u16_sdwa v2, v0, s2 dst_sel:DWORD dst_unused:UNUSED_PAD src0_sel:BYTE_0 src1_sel:DWORD
	v_lshrrev_b16_e32 v98, 12, v2
	v_mul_lo_u16_e32 v2, 17, v98
	v_sub_u16_e32 v2, v0, v2
	s_mov_b64 s[0:1], 0xee
	v_and_b32_e32 v99, 0xff, v2
	v_lshl_add_u64 v[188:189], v[244:245], 0, s[0:1]
	s_mov_b64 s[0:1], 0x165
	v_lshlrev_b32_e32 v2, 5, v99
	global_load_dwordx4 v[88:91], v2, s[6:7] offset:16
	global_load_dwordx4 v[92:95], v2, s[6:7]
	v_lshl_add_u64 v[2:3], v[244:245], 0, s[0:1]
	s_mov_b32 s2, 0xf0f1
	v_mul_u32_u24_sdwa v3, v188, s2 dst_sel:DWORD dst_unused:UNUSED_PAD src0_sel:WORD_0 src1_sel:DWORD
	v_lshrrev_b32_e32 v100, 20, v3
	v_mul_lo_u16_e32 v3, 17, v100
	v_sub_u16_e32 v101, v188, v3
	v_lshlrev_b16_e32 v3, 1, v101
	v_lshlrev_b32_e32 v3, 4, v3
	global_load_dwordx4 v[110:113], v3, s[6:7] offset:16
	global_load_dwordx4 v[114:117], v3, s[6:7]
	v_mul_u32_u24_sdwa v3, v2, s2 dst_sel:DWORD dst_unused:UNUSED_PAD src0_sel:WORD_0 src1_sel:DWORD
	v_lshrrev_b32_e32 v102, 20, v3
	v_mul_lo_u16_e32 v3, 17, v102
	v_sub_u16_e32 v103, v2, v3
	v_lshlrev_b16_e32 v2, 1, v103
	s_mov_b64 s[0:1], 0x1dc
	v_lshlrev_b32_e32 v2, 4, v2
	global_load_dwordx4 v[118:121], v2, s[6:7] offset:16
	global_load_dwordx4 v[122:125], v2, s[6:7]
	v_lshl_add_u64 v[2:3], v[244:245], 0, s[0:1]
	v_mul_u32_u24_sdwa v3, v2, s2 dst_sel:DWORD dst_unused:UNUSED_PAD src0_sel:WORD_0 src1_sel:DWORD
	v_lshrrev_b32_e32 v108, 20, v3
	v_mul_lo_u16_e32 v3, 17, v108
	v_sub_u16_e32 v109, v2, v3
	v_lshlrev_b16_e32 v2, 1, v109
	v_lshlrev_b32_e32 v2, 4, v2
	global_load_dwordx4 v[136:139], v2, s[6:7]
	global_load_dwordx4 v[132:135], v2, s[6:7] offset:16
	v_mov_b32_e32 v2, 4
	v_lshlrev_b32_sdwa v60, v2, v244 dst_sel:DWORD dst_unused:UNUSED_PAD src0_sel:DWORD src1_sel:WORD_0
	ds_read_b128 v[2:5], v60
	ds_read_b128 v[52:55], v60 offset:1904
	ds_read_b128 v[6:9], v60 offset:19040
	;; [unrolled: 1-line block ×14, first 2 shown]
	s_mov_b32 s0, 0xe8584caa
	s_mov_b32 s1, 0x3febb67a
	;; [unrolled: 1-line block ×4, first 2 shown]
	v_mul_u32_u24_e32 v1, 51, v1
	v_add_lshl_u32 v253, v1, v61, 4
	v_mul_u32_u24_e32 v1, 51, v98
	v_add_lshl_u32 v1, v1, v99, 4
	s_waitcnt lgkmcnt(0)
	s_barrier
	v_accvgpr_write_b32 a1, v1
	s_mov_b32 s19, 0xbfee6f0e
	s_mov_b32 s16, 0x372fe950
	;; [unrolled: 1-line block ×4, first 2 shown]
	s_movk_i32 s22, 0xff
                                        ; implicit-def: $vgpr180_vgpr181
                                        ; implicit-def: $vgpr184_vgpr185
                                        ; implicit-def: $vgpr172_vgpr173
                                        ; implicit-def: $vgpr176_vgpr177
	s_waitcnt vmcnt(9)
	v_mul_f64 v[68:69], v[8:9], v[82:83]
	s_waitcnt vmcnt(8)
	v_mul_f64 v[66:67], v[30:31], v[86:87]
	v_mul_f64 v[38:39], v[32:33], v[86:87]
	;; [unrolled: 1-line block ×3, first 2 shown]
	v_fmac_f64_e32 v[66:67], v[32:33], v[84:85]
	v_fma_f64 v[32:33], v[6:7], v[80:81], -v[68:69]
	v_fma_f64 v[30:31], v[30:31], v[84:85], -v[38:39]
	v_accvgpr_write_b32 a4, v80
	v_accvgpr_write_b32 a8, v84
	;; [unrolled: 1-line block ×5, first 2 shown]
	s_waitcnt vmcnt(6)
	v_mul_f64 v[72:73], v[16:17], v[94:95]
	v_fma_f64 v[38:39], v[14:15], v[92:93], -v[72:73]
	v_fmac_f64_e32 v[70:71], v[8:9], v[80:81]
	v_accvgpr_write_b32 a9, v85
	v_accvgpr_write_b32 a10, v86
	;; [unrolled: 1-line block ×4, first 2 shown]
	v_mul_f64 v[76:77], v[12:13], v[90:91]
	v_mul_f64 v[78:79], v[10:11], v[90:91]
	s_waitcnt vmcnt(4)
	v_mul_f64 v[6:7], v[20:21], v[116:117]
	v_fma_f64 v[72:73], v[18:19], v[114:115], -v[6:7]
	v_mul_f64 v[6:7], v[24:25], v[112:113]
	v_fma_f64 v[80:81], v[22:23], v[110:111], -v[6:7]
	v_accvgpr_write_b32 a16, v92
	v_accvgpr_write_b32 a13, v89
	;; [unrolled: 1-line block ×4, first 2 shown]
	s_waitcnt vmcnt(2)
	v_mul_f64 v[6:7], v[36:37], v[124:125]
	v_fma_f64 v[84:85], v[34:35], v[122:123], -v[6:7]
	v_mul_f64 v[86:87], v[34:35], v[124:125]
	v_mul_f64 v[6:7], v[28:29], v[120:121]
	v_fmac_f64_e32 v[86:87], v[36:37], v[122:123]
	v_fma_f64 v[36:37], v[26:27], v[118:119], -v[6:7]
	v_add_f64 v[8:9], v[30:31], v[32:33]
	s_waitcnt vmcnt(1)
	v_mul_f64 v[6:7], v[58:59], v[138:139]
	v_fma_f64 v[90:91], v[56:57], v[136:137], -v[6:7]
	s_waitcnt vmcnt(0)
	v_mul_f64 v[6:7], v[64:65], v[134:135]
	v_mul_f64 v[74:75], v[14:15], v[94:95]
	v_accvgpr_write_b32 a17, v93
	v_accvgpr_write_b32 a18, v94
	;; [unrolled: 1-line block ×3, first 2 shown]
	v_fma_f64 v[68:69], v[10:11], v[88:89], -v[76:77]
	v_fmac_f64_e32 v[78:79], v[12:13], v[88:89]
	v_fma_f64 v[94:95], v[62:63], v[132:133], -v[6:7]
	v_add_f64 v[6:7], v[2:3], v[30:31]
	v_fmac_f64_e32 v[2:3], -0.5, v[8:9]
	v_add_f64 v[8:9], v[66:67], -v[70:71]
	v_add_f64 v[12:13], v[66:67], v[70:71]
	v_fmac_f64_e32 v[74:75], v[16:17], v[92:93]
	v_mul_f64 v[76:77], v[18:19], v[116:117]
	v_fma_f64 v[10:11], s[0:1], v[8:9], v[2:3]
	v_fmac_f64_e32 v[2:3], s[2:3], v[8:9]
	v_add_f64 v[8:9], v[4:5], v[66:67]
	v_fmac_f64_e32 v[4:5], -0.5, v[12:13]
	v_add_f64 v[14:15], v[30:31], -v[32:33]
	v_add_f64 v[16:17], v[38:39], v[68:69]
	v_fmac_f64_e32 v[76:77], v[20:21], v[114:115]
	v_mul_f64 v[82:83], v[22:23], v[112:113]
	v_fma_f64 v[12:13], s[2:3], v[14:15], v[4:5]
	v_fmac_f64_e32 v[4:5], s[0:1], v[14:15]
	;; [unrolled: 8-line block ×3, first 2 shown]
	v_add_f64 v[16:17], v[54:55], v[74:75]
	v_fmac_f64_e32 v[54:55], -0.5, v[20:21]
	v_add_f64 v[22:23], v[38:39], -v[68:69]
	v_add_f64 v[24:25], v[72:73], v[80:81]
	v_fmac_f64_e32 v[88:89], v[28:29], v[118:119]
	v_fma_f64 v[20:21], s[2:3], v[22:23], v[54:55]
	v_fmac_f64_e32 v[54:55], s[0:1], v[22:23]
	v_add_f64 v[22:23], v[48:49], v[72:73]
	v_fmac_f64_e32 v[48:49], -0.5, v[24:25]
	v_add_f64 v[24:25], v[76:77], -v[82:83]
	v_add_f64 v[28:29], v[76:77], v[82:83]
	v_add_f64 v[6:7], v[6:7], v[32:33]
	v_fma_f64 v[26:27], s[0:1], v[24:25], v[48:49]
	v_fmac_f64_e32 v[48:49], s[2:3], v[24:25]
	v_add_f64 v[24:25], v[50:51], v[76:77]
	v_fmac_f64_e32 v[50:51], -0.5, v[28:29]
	v_add_f64 v[30:31], v[72:73], -v[80:81]
	v_add_f64 v[32:33], v[84:85], v[36:37]
	v_fma_f64 v[28:29], s[2:3], v[30:31], v[50:51]
	v_fmac_f64_e32 v[50:51], s[0:1], v[30:31]
	v_add_f64 v[30:31], v[44:45], v[84:85]
	v_fmac_f64_e32 v[44:45], -0.5, v[32:33]
	v_add_f64 v[32:33], v[86:87], -v[88:89]
	;; [unrolled: 6-line block ×3, first 2 shown]
	v_mul_f64 v[92:93], v[56:57], v[138:139]
	v_mul_f64 v[96:97], v[62:63], v[134:135]
	v_add_f64 v[8:9], v[8:9], v[70:71]
	v_add_f64 v[14:15], v[14:15], v[68:69]
	;; [unrolled: 1-line block ×4, first 2 shown]
	v_fma_f64 v[36:37], s[2:3], v[38:39], v[46:47]
	v_fmac_f64_e32 v[46:47], s[0:1], v[38:39]
	v_add_f64 v[38:39], v[40:41], v[90:91]
	v_fmac_f64_e32 v[92:93], v[58:59], v[136:137]
	v_fmac_f64_e32 v[96:97], v[64:65], v[132:133]
	v_add_f64 v[56:57], v[38:39], v[94:95]
	v_add_f64 v[38:39], v[90:91], v[94:95]
	ds_write_b128 v253, v[6:9]
	ds_write_b128 v253, v[10:13] offset:272
	ds_write_b128 v253, v[2:5] offset:544
	ds_write_b128 v1, v[14:17]
	ds_write_b128 v1, v[18:21] offset:272
	ds_write_b128 v1, v[52:55] offset:544
	v_mad_legacy_u16 v1, v100, 51, v101
	v_add_f64 v[22:23], v[22:23], v[80:81]
	v_add_f64 v[24:25], v[24:25], v[82:83]
	v_fmac_f64_e32 v[40:41], -0.5, v[38:39]
	v_add_f64 v[38:39], v[92:93], -v[96:97]
	v_lshlrev_b32_e32 v1, 4, v1
	v_fma_f64 v[62:63], s[0:1], v[38:39], v[40:41]
	v_fmac_f64_e32 v[40:41], s[2:3], v[38:39]
	v_add_f64 v[38:39], v[42:43], v[92:93]
	ds_write_b128 v1, v[22:25]
	ds_write_b128 v1, v[26:29] offset:272
	v_accvgpr_write_b32 a3, v1
	ds_write_b128 v1, v[48:51] offset:544
	v_mad_legacy_u16 v1, v102, 51, v103
	v_add_f64 v[32:33], v[32:33], v[88:89]
	v_add_f64 v[58:59], v[38:39], v[96:97]
	;; [unrolled: 1-line block ×3, first 2 shown]
	v_lshlrev_b32_e32 v1, 4, v1
	v_fmac_f64_e32 v[42:43], -0.5, v[38:39]
	v_add_f64 v[38:39], v[90:91], -v[94:95]
	ds_write_b128 v1, v[30:33]
	ds_write_b128 v1, v[34:37] offset:272
	v_accvgpr_write_b32 a44, v1
	ds_write_b128 v1, v[44:47] offset:544
	v_mad_legacy_u16 v1, v108, 51, v109
	v_fma_f64 v[64:65], s[2:3], v[38:39], v[42:43]
	v_fmac_f64_e32 v[42:43], s[0:1], v[38:39]
	v_lshlrev_b32_e32 v1, 4, v1
	s_movk_i32 s0, 0xa1
	ds_write_b128 v1, v[56:59]
	ds_write_b128 v1, v[62:65] offset:272
	v_accvgpr_write_b32 a45, v1
	ds_write_b128 v1, v[40:43] offset:544
	v_mul_lo_u16_sdwa v1, v244, s0 dst_sel:DWORD dst_unused:UNUSED_PAD src0_sel:BYTE_0 src1_sel:DWORD
	v_lshrrev_b16_e32 v16, 13, v1
	v_mul_lo_u16_e32 v1, 51, v16
	v_sub_u16_e32 v1, v244, v1
	v_and_b32_e32 v17, 0xff, v1
	v_lshlrev_b32_e32 v1, 6, v17
	s_waitcnt lgkmcnt(0)
	s_barrier
	global_load_dwordx4 v[50:53], v1, s[6:7] offset:544
	global_load_dwordx4 v[46:49], v1, s[6:7] offset:560
	;; [unrolled: 1-line block ×4, first 2 shown]
	v_mul_lo_u16_sdwa v1, v0, s0 dst_sel:DWORD dst_unused:UNUSED_PAD src0_sel:BYTE_0 src1_sel:DWORD
	v_lshrrev_b16_e32 v18, 13, v1
	v_mul_lo_u16_e32 v1, 51, v18
	v_sub_u16_e32 v0, v0, v1
	v_and_b32_e32 v19, 0xff, v0
	v_accvgpr_write_b32 a40, v136
	v_lshlrev_b32_e32 v0, 6, v19
	s_mov_b32 s0, 0xa0a1
	v_accvgpr_write_b32 a41, v137
	v_accvgpr_write_b32 a42, v138
	;; [unrolled: 1-line block ×3, first 2 shown]
	global_load_dwordx4 v[68:71], v0, s[6:7] offset:544
	global_load_dwordx4 v[138:141], v0, s[6:7] offset:560
	;; [unrolled: 1-line block ×4, first 2 shown]
	v_mul_u32_u24_sdwa v0, v188, s0 dst_sel:DWORD dst_unused:UNUSED_PAD src0_sel:WORD_0 src1_sel:DWORD
	v_lshrrev_b32_e32 v36, 21, v0
	v_mul_lo_u16_e32 v0, 51, v36
	v_sub_u16_e32 v37, v188, v0
	v_lshlrev_b16_e32 v0, 6, v37
	v_mov_b32_e32 v1, 0
	v_lshl_add_u64 v[0:1], s[6:7], 0, v[0:1]
	global_load_dwordx4 v[96:99], v[0:1], off offset:544
	global_load_dwordx4 v[88:91], v[0:1], off offset:560
	;; [unrolled: 1-line block ×4, first 2 shown]
	v_accvgpr_write_b32 a24, v114
	v_accvgpr_write_b32 a20, v110
	;; [unrolled: 1-line block ×12, first 2 shown]
	ds_read_b128 v[92:95], v60
	ds_read_b128 v[84:87], v60 offset:1904
	ds_read_b128 v[0:3], v60 offset:11424
	;; [unrolled: 1-line block ×14, first 2 shown]
	v_accvgpr_write_b32 a32, v122
	v_accvgpr_write_b32 a33, v123
	;; [unrolled: 1-line block ×8, first 2 shown]
	s_mov_b32 s2, 0x134454ff
	s_mov_b32 s3, 0x3fee6f0e
	;; [unrolled: 1-line block ×6, first 2 shown]
	s_waitcnt lgkmcnt(0)
	s_barrier
	s_waitcnt vmcnt(11)
	v_mul_f64 v[62:63], v[22:23], v[52:53]
	v_fma_f64 v[62:63], v[20:21], v[50:51], -v[62:63]
	v_mul_f64 v[20:21], v[20:21], v[52:53]
	v_fmac_f64_e32 v[20:21], v[22:23], v[50:51]
	s_waitcnt vmcnt(10)
	v_mul_f64 v[22:23], v[2:3], v[48:49]
	v_fma_f64 v[22:23], v[0:1], v[46:47], -v[22:23]
	v_mul_f64 v[120:121], v[0:1], v[48:49]
	s_waitcnt vmcnt(9)
	v_mul_f64 v[0:1], v[34:35], v[44:45]
	v_fma_f64 v[122:123], v[32:33], v[42:43], -v[0:1]
	v_mul_f64 v[32:33], v[32:33], v[44:45]
	s_waitcnt vmcnt(8)
	v_mul_f64 v[0:1], v[10:11], v[40:41]
	v_fmac_f64_e32 v[32:33], v[34:35], v[42:43]
	v_fma_f64 v[34:35], v[8:9], v[38:39], -v[0:1]
	s_waitcnt vmcnt(7)
	v_mul_f64 v[0:1], v[26:27], v[70:71]
	v_fma_f64 v[126:127], v[24:25], v[68:69], -v[0:1]
	v_mul_f64 v[132:133], v[24:25], v[70:71]
	s_waitcnt vmcnt(6)
	v_mul_f64 v[0:1], v[6:7], v[140:141]
	v_add_f64 v[24:25], v[92:93], v[62:63]
	v_fma_f64 v[134:135], v[4:5], v[138:139], -v[0:1]
	v_mul_f64 v[136:137], v[4:5], v[140:141]
	v_accvgpr_write_b32 a70, v138
	s_waitcnt vmcnt(4)
	v_mul_f64 v[0:1], v[110:111], v[66:67]
	v_add_f64 v[24:25], v[24:25], v[22:23]
	v_mul_f64 v[124:125], v[8:9], v[40:41]
	v_accvgpr_write_b32 a71, v139
	v_accvgpr_write_b32 a72, v140
	;; [unrolled: 1-line block ×3, first 2 shown]
	v_fmac_f64_e32 v[136:137], v[6:7], v[138:139]
	v_fma_f64 v[138:139], v[108:109], v[64:65], -v[0:1]
	v_mul_f64 v[0:1], v[14:15], v[56:57]
	v_add_f64 v[24:25], v[24:25], v[122:123]
	v_fmac_f64_e32 v[120:121], v[2:3], v[46:47]
	v_fmac_f64_e32 v[124:125], v[10:11], v[38:39]
	v_mul_f64 v[140:141], v[108:109], v[66:67]
	v_fma_f64 v[142:143], v[12:13], v[54:55], -v[0:1]
	s_waitcnt vmcnt(3)
	v_mul_f64 v[0:1], v[30:31], v[98:99]
	s_waitcnt vmcnt(2)
	v_mul_f64 v[2:3], v[102:103], v[90:91]
	v_add_f64 v[108:109], v[24:25], v[34:35]
	v_add_f64 v[24:25], v[22:23], v[122:123]
	v_fma_f64 v[8:9], v[28:29], v[96:97], -v[0:1]
	v_mul_f64 v[0:1], v[28:29], v[98:99]
	v_fma_f64 v[10:11], v[100:101], v[88:89], -v[2:3]
	v_mul_f64 v[2:3], v[100:101], v[90:91]
	s_waitcnt vmcnt(1)
	v_mul_f64 v[4:5], v[114:115], v[82:83]
	v_fma_f64 v[100:101], -0.5, v[24:25], v[92:93]
	v_add_f64 v[24:25], v[20:21], -v[124:125]
	v_fmac_f64_e32 v[132:133], v[26:27], v[68:69]
	v_mul_f64 v[144:145], v[12:13], v[56:57]
	v_fmac_f64_e32 v[0:1], v[30:31], v[96:97]
	v_fma_f64 v[12:13], v[112:113], v[80:81], -v[4:5]
	v_mul_f64 v[4:5], v[112:113], v[82:83]
	v_fma_f64 v[112:113], s[2:3], v[24:25], v[100:101]
	v_add_f64 v[26:27], v[120:121], -v[32:33]
	v_add_f64 v[28:29], v[62:63], -v[22:23]
	;; [unrolled: 1-line block ×3, first 2 shown]
	v_fmac_f64_e32 v[100:101], s[18:19], v[24:25]
	v_fmac_f64_e32 v[112:113], s[0:1], v[26:27]
	v_add_f64 v[28:29], v[28:29], v[30:31]
	v_fmac_f64_e32 v[100:101], s[20:21], v[26:27]
	v_fmac_f64_e32 v[112:113], s[16:17], v[28:29]
	;; [unrolled: 1-line block ×3, first 2 shown]
	v_add_f64 v[28:29], v[62:63], v[34:35]
	s_waitcnt vmcnt(0)
	v_mul_f64 v[6:7], v[118:119], v[74:75]
	v_fmac_f64_e32 v[92:93], -0.5, v[28:29]
	v_fmac_f64_e32 v[144:145], v[14:15], v[54:55]
	v_fma_f64 v[14:15], v[116:117], v[72:73], -v[6:7]
	v_mul_f64 v[6:7], v[116:117], v[74:75]
	v_fma_f64 v[116:117], s[18:19], v[26:27], v[92:93]
	v_fmac_f64_e32 v[92:93], s[2:3], v[26:27]
	v_fmac_f64_e32 v[116:117], s[0:1], v[24:25]
	;; [unrolled: 1-line block ×3, first 2 shown]
	v_add_f64 v[24:25], v[94:95], v[20:21]
	v_add_f64 v[24:25], v[24:25], v[120:121]
	;; [unrolled: 1-line block ×3, first 2 shown]
	v_fmac_f64_e32 v[140:141], v[110:111], v[64:65]
	v_add_f64 v[28:29], v[22:23], -v[62:63]
	v_add_f64 v[30:31], v[122:123], -v[34:35]
	v_add_f64 v[110:111], v[24:25], v[124:125]
	v_add_f64 v[24:25], v[120:121], v[32:33]
	v_fmac_f64_e32 v[2:3], v[102:103], v[88:89]
	v_add_f64 v[28:29], v[28:29], v[30:31]
	v_fma_f64 v[102:103], -0.5, v[24:25], v[94:95]
	v_add_f64 v[24:25], v[62:63], -v[34:35]
	v_fmac_f64_e32 v[4:5], v[114:115], v[80:81]
	v_fmac_f64_e32 v[116:117], s[16:17], v[28:29]
	;; [unrolled: 1-line block ×3, first 2 shown]
	v_fma_f64 v[114:115], s[18:19], v[24:25], v[102:103]
	v_add_f64 v[22:23], v[22:23], -v[122:123]
	v_add_f64 v[26:27], v[20:21], -v[120:121]
	;; [unrolled: 1-line block ×3, first 2 shown]
	v_fmac_f64_e32 v[102:103], s[2:3], v[24:25]
	v_fmac_f64_e32 v[114:115], s[20:21], v[22:23]
	v_add_f64 v[26:27], v[26:27], v[28:29]
	v_fmac_f64_e32 v[102:103], s[0:1], v[22:23]
	v_fmac_f64_e32 v[114:115], s[16:17], v[26:27]
	;; [unrolled: 1-line block ×3, first 2 shown]
	v_add_f64 v[26:27], v[20:21], v[124:125]
	v_fmac_f64_e32 v[94:95], -0.5, v[26:27]
	v_fmac_f64_e32 v[6:7], v[118:119], v[72:73]
	v_fma_f64 v[118:119], s[2:3], v[22:23], v[94:95]
	v_fmac_f64_e32 v[94:95], s[18:19], v[22:23]
	v_add_f64 v[22:23], v[134:135], v[138:139]
	v_fmac_f64_e32 v[118:119], s[20:21], v[24:25]
	v_add_f64 v[20:21], v[120:121], -v[20:21]
	v_add_f64 v[26:27], v[32:33], -v[124:125]
	v_fmac_f64_e32 v[94:95], s[0:1], v[24:25]
	v_fma_f64 v[24:25], -0.5, v[22:23], v[84:85]
	v_add_f64 v[22:23], v[132:133], -v[144:145]
	v_add_f64 v[20:21], v[20:21], v[26:27]
	v_fma_f64 v[28:29], s[2:3], v[22:23], v[24:25]
	v_add_f64 v[26:27], v[136:137], -v[140:141]
	v_add_f64 v[30:31], v[126:127], -v[134:135]
	;; [unrolled: 1-line block ×3, first 2 shown]
	v_fmac_f64_e32 v[24:25], s[18:19], v[22:23]
	v_fmac_f64_e32 v[28:29], s[0:1], v[26:27]
	v_add_f64 v[30:31], v[30:31], v[32:33]
	v_fmac_f64_e32 v[24:25], s[20:21], v[26:27]
	v_fmac_f64_e32 v[28:29], s[16:17], v[30:31]
	;; [unrolled: 1-line block ×3, first 2 shown]
	v_add_f64 v[30:31], v[126:127], v[142:143]
	v_fmac_f64_e32 v[118:119], s[16:17], v[20:21]
	v_fmac_f64_e32 v[94:95], s[16:17], v[20:21]
	v_add_f64 v[20:21], v[84:85], v[126:127]
	v_fmac_f64_e32 v[84:85], -0.5, v[30:31]
	v_fma_f64 v[32:33], s[18:19], v[26:27], v[84:85]
	v_add_f64 v[30:31], v[134:135], -v[126:127]
	v_add_f64 v[34:35], v[138:139], -v[142:143]
	v_fmac_f64_e32 v[84:85], s[2:3], v[26:27]
	v_add_f64 v[26:27], v[136:137], v[140:141]
	v_fmac_f64_e32 v[32:33], s[0:1], v[22:23]
	v_add_f64 v[30:31], v[30:31], v[34:35]
	v_fmac_f64_e32 v[84:85], s[20:21], v[22:23]
	v_fma_f64 v[26:27], -0.5, v[26:27], v[86:87]
	v_add_f64 v[62:63], v[126:127], -v[142:143]
	v_fmac_f64_e32 v[32:33], s[16:17], v[30:31]
	v_fmac_f64_e32 v[84:85], s[16:17], v[30:31]
	v_fma_f64 v[30:31], s[18:19], v[62:63], v[26:27]
	v_add_f64 v[120:121], v[134:135], -v[138:139]
	v_add_f64 v[34:35], v[132:133], -v[136:137]
	;; [unrolled: 1-line block ×3, first 2 shown]
	v_fmac_f64_e32 v[26:27], s[2:3], v[62:63]
	v_fmac_f64_e32 v[30:31], s[20:21], v[120:121]
	v_add_f64 v[34:35], v[34:35], v[122:123]
	v_fmac_f64_e32 v[26:27], s[0:1], v[120:121]
	v_fmac_f64_e32 v[30:31], s[16:17], v[34:35]
	;; [unrolled: 1-line block ×3, first 2 shown]
	v_add_f64 v[34:35], v[132:133], v[144:145]
	v_add_f64 v[22:23], v[86:87], v[132:133]
	v_fmac_f64_e32 v[86:87], -0.5, v[34:35]
	v_fma_f64 v[34:35], s[2:3], v[120:121], v[86:87]
	v_fmac_f64_e32 v[86:87], s[18:19], v[120:121]
	v_fmac_f64_e32 v[34:35], s[20:21], v[62:63]
	;; [unrolled: 1-line block ×3, first 2 shown]
	v_add_f64 v[62:63], v[76:77], v[8:9]
	v_add_f64 v[62:63], v[62:63], v[10:11]
	;; [unrolled: 1-line block ×3, first 2 shown]
	v_add_f64 v[122:123], v[136:137], -v[132:133]
	v_add_f64 v[124:125], v[140:141], -v[144:145]
	v_add_f64 v[120:121], v[62:63], v[14:15]
	v_add_f64 v[62:63], v[10:11], v[12:13]
	;; [unrolled: 1-line block ×3, first 2 shown]
	v_fma_f64 v[160:161], -0.5, v[62:63], v[76:77]
	v_add_f64 v[62:63], v[0:1], -v[6:7]
	v_fmac_f64_e32 v[34:35], s[16:17], v[122:123]
	v_fmac_f64_e32 v[86:87], s[16:17], v[122:123]
	v_fma_f64 v[124:125], s[2:3], v[62:63], v[160:161]
	v_add_f64 v[122:123], v[2:3], -v[4:5]
	v_add_f64 v[126:127], v[8:9], -v[10:11]
	;; [unrolled: 1-line block ×3, first 2 shown]
	v_fmac_f64_e32 v[160:161], s[18:19], v[62:63]
	v_fmac_f64_e32 v[124:125], s[0:1], v[122:123]
	v_add_f64 v[126:127], v[126:127], v[132:133]
	v_fmac_f64_e32 v[160:161], s[20:21], v[122:123]
	v_fmac_f64_e32 v[124:125], s[16:17], v[126:127]
	;; [unrolled: 1-line block ×3, first 2 shown]
	v_add_f64 v[126:127], v[8:9], v[14:15]
	v_fmac_f64_e32 v[76:77], -0.5, v[126:127]
	v_fma_f64 v[132:133], s[18:19], v[122:123], v[76:77]
	v_fmac_f64_e32 v[76:77], s[2:3], v[122:123]
	v_fmac_f64_e32 v[132:133], s[0:1], v[62:63]
	;; [unrolled: 1-line block ×3, first 2 shown]
	v_add_f64 v[62:63], v[78:79], v[0:1]
	v_add_f64 v[62:63], v[62:63], v[2:3]
	v_add_f64 v[62:63], v[62:63], v[4:5]
	v_add_f64 v[20:21], v[20:21], v[134:135]
	v_add_f64 v[126:127], v[10:11], -v[8:9]
	v_add_f64 v[134:135], v[12:13], -v[14:15]
	v_add_f64 v[122:123], v[62:63], v[6:7]
	v_add_f64 v[62:63], v[2:3], v[4:5]
	;; [unrolled: 1-line block ×3, first 2 shown]
	v_fma_f64 v[162:163], -0.5, v[62:63], v[78:79]
	v_add_f64 v[8:9], v[8:9], -v[14:15]
	v_fmac_f64_e32 v[132:133], s[16:17], v[126:127]
	v_fmac_f64_e32 v[76:77], s[16:17], v[126:127]
	v_fma_f64 v[126:127], s[18:19], v[8:9], v[162:163]
	v_add_f64 v[10:11], v[10:11], -v[12:13]
	v_add_f64 v[12:13], v[0:1], -v[2:3]
	;; [unrolled: 1-line block ×3, first 2 shown]
	v_fmac_f64_e32 v[162:163], s[2:3], v[8:9]
	v_fmac_f64_e32 v[126:127], s[20:21], v[10:11]
	v_add_f64 v[12:13], v[12:13], v[14:15]
	v_fmac_f64_e32 v[162:163], s[0:1], v[10:11]
	v_fmac_f64_e32 v[126:127], s[16:17], v[12:13]
	;; [unrolled: 1-line block ×3, first 2 shown]
	v_add_f64 v[12:13], v[0:1], v[6:7]
	v_fmac_f64_e32 v[78:79], -0.5, v[12:13]
	v_fma_f64 v[134:135], s[2:3], v[10:11], v[78:79]
	v_add_f64 v[0:1], v[2:3], -v[0:1]
	v_add_f64 v[2:3], v[4:5], -v[6:7]
	v_fmac_f64_e32 v[78:79], s[18:19], v[10:11]
	v_fmac_f64_e32 v[134:135], s[20:21], v[8:9]
	v_add_f64 v[0:1], v[0:1], v[2:3]
	v_fmac_f64_e32 v[78:79], s[0:1], v[8:9]
	v_fmac_f64_e32 v[134:135], s[16:17], v[0:1]
	;; [unrolled: 1-line block ×3, first 2 shown]
	v_mul_u32_u24_e32 v0, 0xff, v16
	v_add_f64 v[22:23], v[22:23], v[136:137]
	v_add_lshl_u32 v0, v0, v17, 4
	v_add_f64 v[20:21], v[20:21], v[138:139]
	v_add_f64 v[22:23], v[22:23], v[140:141]
	ds_write_b128 v0, v[108:111]
	ds_write_b128 v0, v[112:115] offset:816
	ds_write_b128 v0, v[116:119] offset:1632
	;; [unrolled: 1-line block ×3, first 2 shown]
	v_accvgpr_write_b32 a94, v0
	ds_write_b128 v0, v[100:103] offset:3264
	v_mul_u32_u24_e32 v0, 0xff, v18
	v_add_f64 v[20:21], v[20:21], v[142:143]
	v_add_f64 v[22:23], v[22:23], v[144:145]
	v_add_lshl_u32 v0, v0, v19, 4
	ds_write_b128 v0, v[20:23]
	ds_write_b128 v0, v[28:31] offset:816
	ds_write_b128 v0, v[32:35] offset:1632
	;; [unrolled: 1-line block ×3, first 2 shown]
	v_accvgpr_write_b32 a95, v0
	ds_write_b128 v0, v[24:27] offset:3264
	v_mad_legacy_u16 v0, v36, s22, v37
	v_lshlrev_b32_e32 v61, 4, v0
	ds_write_b128 v61, v[120:123]
	ds_write_b128 v61, v[124:127] offset:816
	ds_write_b128 v61, v[132:135] offset:1632
	;; [unrolled: 1-line block ×4, first 2 shown]
	s_waitcnt lgkmcnt(0)
	s_barrier
	ds_read_b128 v[168:171], v60
	ds_read_b128 v[164:167], v60 offset:1904
	ds_read_b128 v[152:155], v60 offset:4080
	;; [unrolled: 1-line block ×13, first 2 shown]
	v_accvgpr_write_b32 a61, v53
	v_accvgpr_write_b32 a57, v49
	;; [unrolled: 1-line block ×24, first 2 shown]
	v_cmp_gt_u16_e64 s[2:3], 17, v244
	s_and_saveexec_b64 s[0:1], s[2:3]
	s_cbranch_execz .LBB0_9
; %bb.8:
	ds_read_b128 v[160:163], v60 offset:3808
	ds_read_b128 v[128:131], v60 offset:7888
	;; [unrolled: 1-line block ×7, first 2 shown]
.LBB0_9:
	s_or_b64 exec, exec, s[0:1]
	s_movk_i32 s0, 0x60
	v_mov_b64_e32 v[0:1], s[6:7]
	v_mad_u64_u32 v[16:17], s[0:1], v244, s0, v[0:1]
	global_load_dwordx4 v[108:111], v[16:17], off offset:3856
	global_load_dwordx4 v[112:115], v[16:17], off offset:3840
	;; [unrolled: 1-line block ×4, first 2 shown]
	s_mov_b64 s[0:1], 0x2ca0
	v_lshl_add_u64 v[32:33], v[16:17], 0, s[0:1]
	s_mov_b32 s0, 0x36b3c0b5
	s_mov_b32 s18, 0xe976ee23
	;; [unrolled: 1-line block ×18, first 2 shown]
	s_waitcnt vmcnt(3) lgkmcnt(5)
	v_mul_f64 v[12:13], v[122:123], v[110:111]
	s_waitcnt vmcnt(2)
	v_mul_f64 v[8:9], v[134:135], v[114:115]
	v_mul_f64 v[10:11], v[132:133], v[114:115]
	;; [unrolled: 1-line block ×3, first 2 shown]
	v_fma_f64 v[8:9], v[132:133], v[112:113], -v[8:9]
	v_fmac_f64_e32 v[10:11], v[134:135], v[112:113]
	v_fma_f64 v[12:13], v[120:121], v[108:109], -v[12:13]
	v_fmac_f64_e32 v[14:15], v[122:123], v[108:109]
	global_load_dwordx4 v[120:123], v[16:17], off offset:3888
	global_load_dwordx4 v[132:135], v[16:17], off offset:3872
	s_waitcnt vmcnt(2)
	v_mul_f64 v[0:1], v[154:155], v[126:127]
	v_mul_f64 v[2:3], v[152:153], v[126:127]
	;; [unrolled: 1-line block ×4, first 2 shown]
	v_fma_f64 v[0:1], v[152:153], v[124:125], -v[0:1]
	v_fmac_f64_e32 v[2:3], v[154:155], v[124:125]
	v_fma_f64 v[4:5], v[144:145], v[116:117], -v[4:5]
	v_fmac_f64_e32 v[6:7], v[146:147], v[116:117]
	s_waitcnt vmcnt(1) lgkmcnt(1)
	v_mul_f64 v[196:197], v[136:137], v[122:123]
	s_waitcnt vmcnt(0)
	v_mul_f64 v[18:19], v[142:143], v[134:135]
	v_fma_f64 v[190:191], v[140:141], v[132:133], -v[18:19]
	v_mul_f64 v[192:193], v[140:141], v[134:135]
	v_mul_f64 v[18:19], v[138:139], v[122:123]
	v_fmac_f64_e32 v[192:193], v[142:143], v[132:133]
	v_fma_f64 v[194:195], v[136:137], v[120:121], -v[18:19]
	v_fmac_f64_e32 v[196:197], v[138:139], v[120:121]
	global_load_dwordx4 v[136:139], v[32:33], off offset:3856
	global_load_dwordx4 v[140:143], v[32:33], off offset:3840
	;; [unrolled: 1-line block ×4, first 2 shown]
	s_waitcnt vmcnt(3)
	v_mul_f64 v[28:29], v[94:95], v[138:139]
	s_waitcnt vmcnt(2)
	v_mul_f64 v[24:25], v[102:103], v[142:143]
	;; [unrolled: 2-line block ×4, first 2 shown]
	v_mul_f64 v[18:19], v[156:157], v[154:155]
	v_mul_f64 v[22:23], v[148:149], v[146:147]
	v_fma_f64 v[16:17], v[156:157], v[152:153], -v[16:17]
	v_fmac_f64_e32 v[18:19], v[158:159], v[152:153]
	v_fma_f64 v[20:21], v[148:149], v[144:145], -v[20:21]
	v_fmac_f64_e32 v[22:23], v[150:151], v[144:145]
	global_load_dwordx4 v[148:151], v[32:33], off offset:3888
	global_load_dwordx4 v[156:159], v[32:33], off offset:3872
	v_fma_f64 v[24:25], v[100:101], v[140:141], -v[24:25]
	v_mul_f64 v[26:27], v[100:101], v[142:143]
	v_fmac_f64_e32 v[26:27], v[102:103], v[140:141]
	v_mul_f64 v[30:31], v[92:93], v[138:139]
	v_fma_f64 v[28:29], v[92:93], v[136:137], -v[28:29]
	v_fmac_f64_e32 v[30:31], v[94:95], v[136:137]
	s_waitcnt vmcnt(1) lgkmcnt(0)
	v_mul_f64 v[206:207], v[76:77], v[150:151]
	s_waitcnt vmcnt(0)
	v_mul_f64 v[32:33], v[86:87], v[158:159]
	v_fma_f64 v[100:101], v[84:85], v[156:157], -v[32:33]
	v_mul_f64 v[32:33], v[78:79], v[150:151]
	v_fma_f64 v[204:205], v[76:77], v[148:149], -v[32:33]
	v_subrev_u32_e32 v32, 17, v244
	v_cndmask_b32_e64 v32, v32, v188, s[2:3]
	v_mul_hi_i32_i24_e32 v33, 0x60, v32
	v_mul_i32_i24_e32 v32, 0x60, v32
	v_lshl_add_u64 v[188:189], s[6:7], 0, v[32:33]
	global_load_dwordx4 v[36:39], v[188:189], off offset:3856
	global_load_dwordx4 v[40:43], v[188:189], off offset:3840
	;; [unrolled: 1-line block ×4, first 2 shown]
	v_mul_f64 v[102:103], v[84:85], v[158:159]
	v_fmac_f64_e32 v[102:103], v[86:87], v[156:157]
	v_fmac_f64_e32 v[206:207], v[78:79], v[148:149]
	s_mov_b32 s6, 0x37e14327
	s_mov_b32 s7, 0x3fe948f6
	s_waitcnt vmcnt(3)
	v_mul_f64 v[92:93], v[186:187], v[38:39]
	s_waitcnt vmcnt(2)
	v_mul_f64 v[84:85], v[182:183], v[42:43]
	v_mul_f64 v[86:87], v[180:181], v[42:43]
	v_accvgpr_write_b32 a81, v43
	v_mul_f64 v[94:95], v[184:185], v[38:39]
	v_accvgpr_write_b32 a77, v39
	v_fma_f64 v[84:85], v[180:181], v[40:41], -v[84:85]
	v_accvgpr_write_b32 a80, v42
	v_accvgpr_write_b32 a79, v41
	;; [unrolled: 1-line block ×3, first 2 shown]
	v_fmac_f64_e32 v[86:87], v[182:183], v[40:41]
	v_fma_f64 v[92:93], v[184:185], v[36:37], -v[92:93]
	v_accvgpr_write_b32 a76, v38
	v_accvgpr_write_b32 a75, v37
	;; [unrolled: 1-line block ×3, first 2 shown]
	v_fmac_f64_e32 v[94:95], v[186:187], v[36:37]
	global_load_dwordx4 v[36:39], v[188:189], off offset:3888
	global_load_dwordx4 v[40:43], v[188:189], off offset:3872
	s_waitcnt vmcnt(2)
	v_mul_f64 v[32:33], v[130:131], v[50:51]
	v_mul_f64 v[34:35], v[128:129], v[50:51]
	v_mul_f64 v[76:77], v[106:107], v[46:47]
	v_mul_f64 v[78:79], v[104:105], v[46:47]
	v_fma_f64 v[32:33], v[128:129], v[48:49], -v[32:33]
	v_fmac_f64_e32 v[34:35], v[130:131], v[48:49]
	v_fma_f64 v[76:77], v[104:105], v[44:45], -v[76:77]
	v_fmac_f64_e32 v[78:79], v[106:107], v[44:45]
	v_add_f64 v[180:181], v[8:9], v[12:13]
	v_add_f64 v[182:183], v[10:11], v[14:15]
	v_add_f64 v[8:9], v[12:13], -v[8:9]
	v_add_f64 v[10:11], v[14:15], -v[10:11]
	v_accvgpr_write_b32 a89, v51
	v_accvgpr_write_b32 a85, v47
	;; [unrolled: 1-line block ×8, first 2 shown]
	s_waitcnt vmcnt(1)
	v_mul_f64 v[128:129], v[178:179], v[38:39]
	s_waitcnt vmcnt(0)
	v_mul_f64 v[104:105], v[174:175], v[42:43]
	v_mul_f64 v[106:107], v[172:173], v[42:43]
	;; [unrolled: 1-line block ×3, first 2 shown]
	v_fma_f64 v[104:105], v[172:173], v[40:41], -v[104:105]
	v_fmac_f64_e32 v[106:107], v[174:175], v[40:41]
	v_fma_f64 v[128:129], v[176:177], v[36:37], -v[128:129]
	v_fmac_f64_e32 v[130:131], v[178:179], v[36:37]
	v_add_f64 v[172:173], v[0:1], v[194:195]
	v_add_f64 v[174:175], v[2:3], v[196:197]
	;; [unrolled: 1-line block ×4, first 2 shown]
	v_add_f64 v[0:1], v[0:1], -v[194:195]
	v_add_f64 v[2:3], v[2:3], -v[196:197]
	;; [unrolled: 1-line block ×4, first 2 shown]
	v_add_f64 v[12:13], v[176:177], v[172:173]
	v_add_f64 v[14:15], v[178:179], v[174:175]
	v_add_f64 v[184:185], v[176:177], -v[172:173]
	v_add_f64 v[186:187], v[178:179], -v[174:175]
	;; [unrolled: 1-line block ×6, first 2 shown]
	v_add_f64 v[176:177], v[8:9], v[4:5]
	v_add_f64 v[178:179], v[10:11], v[6:7]
	v_add_f64 v[192:193], v[8:9], -v[4:5]
	v_add_f64 v[194:195], v[10:11], -v[6:7]
	;; [unrolled: 1-line block ×4, first 2 shown]
	v_add_f64 v[12:13], v[180:181], v[12:13]
	v_add_f64 v[14:15], v[182:183], v[14:15]
	v_add_f64 v[8:9], v[0:1], -v[8:9]
	v_add_f64 v[10:11], v[2:3], -v[10:11]
	v_add_f64 v[0:1], v[176:177], v[0:1]
	v_add_f64 v[2:3], v[178:179], v[2:3]
	v_add_f64 v[176:177], v[168:169], v[12:13]
	v_add_f64 v[178:179], v[170:171], v[14:15]
	v_mul_f64 v[168:169], v[172:173], s[6:7]
	v_mul_f64 v[170:171], v[174:175], s[6:7]
	;; [unrolled: 1-line block ×8, first 2 shown]
	v_fma_f64 v[12:13], s[20:21], v[12:13], v[176:177]
	v_fma_f64 v[14:15], s[20:21], v[14:15], v[178:179]
	v_fma_f64 v[172:173], v[184:185], s[22:23], -v[172:173]
	v_fma_f64 v[174:175], v[186:187], s[22:23], -v[174:175]
	;; [unrolled: 1-line block ×3, first 2 shown]
	v_fmac_f64_e32 v[168:169], s[0:1], v[188:189]
	v_fma_f64 v[186:187], v[186:187], s[24:25], -v[170:171]
	v_fmac_f64_e32 v[170:171], s[0:1], v[190:191]
	v_fma_f64 v[4:5], v[4:5], s[16:17], -v[202:203]
	;; [unrolled: 2-line block ×4, first 2 shown]
	v_fma_f64 v[10:11], v[10:11], s[30:31], -v[182:183]
	v_add_f64 v[168:169], v[168:169], v[12:13]
	v_add_f64 v[170:171], v[170:171], v[14:15]
	;; [unrolled: 1-line block ×6, first 2 shown]
	v_fmac_f64_e32 v[8:9], s[28:29], v[0:1]
	v_fmac_f64_e32 v[10:11], s[28:29], v[2:3]
	;; [unrolled: 1-line block ×6, first 2 shown]
	v_add_f64 v[184:185], v[10:11], v[12:13]
	v_add_f64 v[186:187], v[14:15], -v[8:9]
	v_add_f64 v[196:197], v[12:13], -v[10:11]
	v_add_f64 v[198:199], v[8:9], v[14:15]
	v_add_f64 v[0:1], v[16:17], v[204:205]
	;; [unrolled: 1-line block ×5, first 2 shown]
	v_add_f64 v[188:189], v[172:173], -v[6:7]
	v_add_f64 v[190:191], v[4:5], v[174:175]
	v_add_f64 v[192:193], v[6:7], v[172:173]
	v_add_f64 v[194:195], v[174:175], -v[4:5]
	v_add_f64 v[4:5], v[16:17], -v[204:205]
	;; [unrolled: 1-line block ×5, first 2 shown]
	v_add_f64 v[16:17], v[24:25], v[28:29]
	v_add_f64 v[18:19], v[26:27], v[30:31]
	v_add_f64 v[20:21], v[28:29], -v[24:25]
	v_add_f64 v[22:23], v[30:31], -v[26:27]
	v_add_f64 v[24:25], v[8:9], v[0:1]
	v_add_f64 v[26:27], v[10:11], v[2:3]
	;; [unrolled: 1-line block ×3, first 2 shown]
	v_add_f64 v[200:201], v[168:169], -v[200:201]
	v_add_f64 v[28:29], v[8:9], -v[0:1]
	;; [unrolled: 1-line block ×7, first 2 shown]
	v_add_f64 v[100:101], v[20:21], v[12:13]
	v_add_f64 v[168:169], v[20:21], -v[12:13]
	v_add_f64 v[16:17], v[16:17], v[24:25]
	v_add_f64 v[18:19], v[18:19], v[26:27]
	v_add_f64 v[182:183], v[170:171], -v[202:203]
	v_add_f64 v[202:203], v[202:203], v[170:171]
	v_add_f64 v[102:103], v[22:23], v[14:15]
	v_add_f64 v[170:171], v[22:23], -v[14:15]
	v_add_f64 v[20:21], v[4:5], -v[20:21]
	;; [unrolled: 1-line block ×4, first 2 shown]
	v_add_f64 v[4:5], v[100:101], v[4:5]
	v_add_f64 v[204:205], v[164:165], v[16:17]
	;; [unrolled: 1-line block ×3, first 2 shown]
	v_mul_f64 v[0:1], v[0:1], s[6:7]
	v_mul_f64 v[2:3], v[2:3], s[6:7]
	;; [unrolled: 1-line block ×5, first 2 shown]
	v_add_f64 v[22:23], v[6:7], -v[22:23]
	v_add_f64 v[6:7], v[102:103], v[6:7]
	v_mul_f64 v[102:103], v[170:171], s[18:19]
	v_mul_f64 v[164:165], v[12:13], s[16:17]
	;; [unrolled: 1-line block ×3, first 2 shown]
	v_fma_f64 v[16:17], s[20:21], v[16:17], v[204:205]
	v_fma_f64 v[18:19], s[20:21], v[18:19], v[206:207]
	v_fma_f64 v[24:25], v[28:29], s[22:23], -v[24:25]
	v_fma_f64 v[26:27], v[30:31], s[22:23], -v[26:27]
	v_fma_f64 v[28:29], v[28:29], s[24:25], -v[0:1]
	v_fmac_f64_e32 v[0:1], s[0:1], v[8:9]
	v_fma_f64 v[8:9], v[30:31], s[24:25], -v[2:3]
	v_fmac_f64_e32 v[2:3], s[0:1], v[10:11]
	v_fma_f64 v[10:11], v[12:13], s[16:17], -v[100:101]
	;; [unrolled: 2-line block ×4, first 2 shown]
	v_fma_f64 v[20:21], v[22:23], s[30:31], -v[166:167]
	v_add_f64 v[2:3], v[2:3], v[18:19]
	v_add_f64 v[22:23], v[24:25], v[16:17]
	;; [unrolled: 1-line block ×3, first 2 shown]
	v_fmac_f64_e32 v[100:101], s[28:29], v[4:5]
	v_fmac_f64_e32 v[10:11], s[28:29], v[4:5]
	v_add_f64 v[0:1], v[0:1], v[16:17]
	v_add_f64 v[16:17], v[28:29], v[16:17]
	;; [unrolled: 1-line block ×3, first 2 shown]
	v_fmac_f64_e32 v[102:103], s[28:29], v[6:7]
	v_fmac_f64_e32 v[12:13], s[28:29], v[6:7]
	;; [unrolled: 1-line block ×4, first 2 shown]
	v_add_f64 v[210:211], v[2:3], -v[100:101]
	v_add_f64 v[218:219], v[10:11], v[24:25]
	v_add_f64 v[222:223], v[24:25], -v[10:11]
	v_add_f64 v[230:231], v[100:101], v[2:3]
	v_add_f64 v[2:3], v[34:35], v[130:131]
	;; [unrolled: 1-line block ×5, first 2 shown]
	v_add_f64 v[214:215], v[8:9], -v[14:15]
	v_add_f64 v[216:217], v[22:23], -v[12:13]
	v_add_f64 v[220:221], v[12:13], v[22:23]
	v_add_f64 v[224:225], v[16:17], -v[20:21]
	v_add_f64 v[226:227], v[14:15], v[8:9]
	;; [unrolled: 2-line block ×3, first 2 shown]
	v_add_f64 v[8:9], v[76:77], v[104:105]
	v_add_f64 v[12:13], v[76:77], -v[104:105]
	v_add_f64 v[18:19], v[86:87], v[94:95]
	v_add_f64 v[20:21], v[92:93], -v[84:85]
	;; [unrolled: 2-line block ×3, first 2 shown]
	v_add_f64 v[6:7], v[34:35], -v[130:131]
	v_add_f64 v[14:15], v[78:79], -v[106:107]
	v_add_f64 v[16:17], v[84:85], v[92:93]
	v_add_f64 v[22:23], v[94:95], -v[86:87]
	v_add_f64 v[24:25], v[8:9], v[0:1]
	v_add_f64 v[30:31], v[10:11], -v[2:3]
	v_add_f64 v[2:3], v[2:3], -v[18:19]
	;; [unrolled: 1-line block ×3, first 2 shown]
	v_add_f64 v[32:33], v[20:21], v[12:13]
	v_add_f64 v[76:77], v[20:21], -v[12:13]
	v_add_f64 v[18:19], v[18:19], v[26:27]
	v_add_f64 v[28:29], v[8:9], -v[0:1]
	v_add_f64 v[0:1], v[0:1], -v[16:17]
	;; [unrolled: 1-line block ×3, first 2 shown]
	v_add_f64 v[34:35], v[22:23], v[14:15]
	v_add_f64 v[78:79], v[22:23], -v[14:15]
	v_add_f64 v[20:21], v[4:5], -v[20:21]
	;; [unrolled: 1-line block ×4, first 2 shown]
	v_add_f64 v[16:17], v[16:17], v[24:25]
	v_add_f64 v[4:5], v[32:33], v[4:5]
	;; [unrolled: 1-line block ×3, first 2 shown]
	v_mul_f64 v[26:27], v[10:11], s[0:1]
	v_mul_f64 v[32:33], v[76:77], s[18:19]
	v_add_f64 v[22:23], v[6:7], -v[22:23]
	v_add_f64 v[6:7], v[34:35], v[6:7]
	v_add_f64 v[240:241], v[160:161], v[16:17]
	v_mul_f64 v[24:25], v[8:9], s[0:1]
	v_mul_f64 v[34:35], v[78:79], s[18:19]
	;; [unrolled: 1-line block ×4, first 2 shown]
	v_fma_f64 v[18:19], s[20:21], v[18:19], v[242:243]
	v_fma_f64 v[26:27], v[30:31], s[22:23], -v[26:27]
	v_fma_f64 v[12:13], v[12:13], s[16:17], -v[32:33]
	v_mul_f64 v[0:1], v[0:1], s[6:7]
	v_mul_f64 v[2:3], v[2:3], s[6:7]
	v_fma_f64 v[16:17], s[20:21], v[16:17], v[240:241]
	v_fma_f64 v[24:25], v[28:29], s[22:23], -v[24:25]
	v_fma_f64 v[14:15], v[14:15], s[16:17], -v[34:35]
	v_fmac_f64_e32 v[34:35], s[26:27], v[22:23]
	v_fma_f64 v[22:23], v[22:23], s[30:31], -v[78:79]
	v_add_f64 v[26:27], v[26:27], v[18:19]
	v_fmac_f64_e32 v[12:13], s[28:29], v[4:5]
	v_fma_f64 v[8:9], s[0:1], v[8:9], v[0:1]
	v_fma_f64 v[0:1], v[28:29], s[24:25], -v[0:1]
	v_fma_f64 v[28:29], v[30:31], s[24:25], -v[2:3]
	v_fmac_f64_e32 v[2:3], s[0:1], v[10:11]
	v_fma_f64 v[10:11], s[26:27], v[20:21], v[32:33]
	v_fma_f64 v[20:21], v[20:21], s[30:31], -v[76:77]
	v_add_f64 v[24:25], v[24:25], v[16:17]
	v_fmac_f64_e32 v[34:35], s[28:29], v[6:7]
	v_fmac_f64_e32 v[14:15], s[28:29], v[6:7]
	;; [unrolled: 1-line block ×3, first 2 shown]
	v_add_f64 v[6:7], v[12:13], v[26:27]
	v_fmac_f64_e32 v[10:11], s[28:29], v[4:5]
	v_fmac_f64_e32 v[20:21], s[28:29], v[4:5]
	v_add_f64 v[4:5], v[24:25], -v[14:15]
	v_accvgpr_write_b32 a103, v7
	v_accvgpr_write_b32 a102, v6
	;; [unrolled: 1-line block ×4, first 2 shown]
	v_add_f64 v[6:7], v[26:27], -v[12:13]
	v_add_f64 v[8:9], v[8:9], v[16:17]
	v_add_f64 v[2:3], v[2:3], v[18:19]
	;; [unrolled: 1-line block ×5, first 2 shown]
	v_accvgpr_write_b32 a107, v7
	v_add_f64 v[246:247], v[2:3], -v[10:11]
	v_accvgpr_write_b32 a106, v6
	v_accvgpr_write_b32 a105, v5
	v_accvgpr_write_b32 a104, v4
	v_add_f64 v[6:7], v[20:21], v[16:17]
	v_add_f64 v[2:3], v[10:11], v[2:3]
	v_accvgpr_write_b32 a99, v43
	v_accvgpr_write_b32 a93, v39
	v_add_f64 v[248:249], v[22:23], v[0:1]
	v_add_f64 v[4:5], v[0:1], -v[22:23]
	v_accvgpr_write_b32 a111, v7
	v_add_f64 v[0:1], v[8:9], -v[34:35]
	v_accvgpr_write_b32 a115, v3
	v_accvgpr_write_b32 a98, v42
	;; [unrolled: 1-line block ×7, first 2 shown]
	v_add_f64 v[244:245], v[34:35], v[8:9]
	v_add_f64 v[250:251], v[16:17], -v[20:21]
	v_accvgpr_write_b32 a110, v6
	v_accvgpr_write_b32 a109, v5
	;; [unrolled: 1-line block ×6, first 2 shown]
	ds_write_b128 v60, v[176:179]
	ds_write_b128 v60, v[180:183] offset:4080
	ds_write_b128 v60, v[184:187] offset:8160
	;; [unrolled: 1-line block ×13, first 2 shown]
	s_and_saveexec_b64 s[0:1], s[2:3]
	s_cbranch_execz .LBB0_11
; %bb.10:
	ds_write_b128 v60, v[240:243] offset:3808
	ds_write_b128 v60, v[244:247] offset:7888
	;; [unrolled: 1-line block ×7, first 2 shown]
.LBB0_11:
	s_or_b64 exec, exec, s[0:1]
	s_waitcnt lgkmcnt(0)
	s_barrier
	s_and_saveexec_b64 s[0:1], s[4:5]
	s_cbranch_execz .LBB0_13
; %bb.12:
	v_mov_b32_e32 v2, v253
	v_mov_b32_e32 v253, 0
	v_lshl_add_u64 v[0:1], s[12:13], 0, v[252:253]
	v_add_co_u32_e32 v6, vcc, 0x6000, v0
	v_mov_b32_e32 v253, v2
	s_nop 0
	v_addc_co_u32_e32 v7, vcc, 0, v1, vcc
	global_load_dwordx4 v[6:9], v[6:7], off offset:3984
	ds_read_b128 v[2:5], v60
	s_mov_b64 s[6:7], 0x6f90
	v_lshl_add_u64 v[14:15], v[0:1], 0, s[6:7]
	s_mov_b32 s6, 0x8000
	s_waitcnt vmcnt(0) lgkmcnt(0)
	v_mul_f64 v[10:11], v[4:5], v[8:9]
	v_mul_f64 v[12:13], v[2:3], v[8:9]
	v_fma_f64 v[10:11], v[2:3], v[6:7], -v[10:11]
	v_fmac_f64_e32 v[12:13], v[4:5], v[6:7]
	global_load_dwordx4 v[6:9], v[14:15], off offset:1680
	ds_write_b128 v60, v[10:13]
	ds_read_b128 v[2:5], v252 offset:1680
	ds_read_b128 v[76:79], v252 offset:26880
	s_waitcnt vmcnt(0) lgkmcnt(1)
	v_mul_f64 v[10:11], v[4:5], v[8:9]
	v_mul_f64 v[12:13], v[2:3], v[8:9]
	v_fma_f64 v[10:11], v[2:3], v[6:7], -v[10:11]
	v_fmac_f64_e32 v[12:13], v[4:5], v[6:7]
	global_load_dwordx4 v[6:9], v[14:15], off offset:3360
	ds_read_b128 v[2:5], v252 offset:3360
	v_add_co_u32_e32 v14, vcc, s6, v0
	ds_write_b128 v252, v[10:13] offset:1680
	s_nop 0
	v_addc_co_u32_e32 v15, vcc, 0, v1, vcc
	s_mov_b32 s6, 0x9000
	s_waitcnt vmcnt(0) lgkmcnt(1)
	v_mul_f64 v[10:11], v[4:5], v[8:9]
	v_mul_f64 v[12:13], v[2:3], v[8:9]
	v_fma_f64 v[10:11], v[2:3], v[6:7], -v[10:11]
	v_fmac_f64_e32 v[12:13], v[4:5], v[6:7]
	global_load_dwordx4 v[6:9], v[14:15], off offset:832
	ds_read_b128 v[2:5], v252 offset:5040
	ds_write_b128 v252, v[10:13] offset:3360
	s_waitcnt vmcnt(0) lgkmcnt(1)
	v_mul_f64 v[10:11], v[4:5], v[8:9]
	v_mul_f64 v[12:13], v[2:3], v[8:9]
	v_fma_f64 v[10:11], v[2:3], v[6:7], -v[10:11]
	v_fmac_f64_e32 v[12:13], v[4:5], v[6:7]
	global_load_dwordx4 v[6:9], v[14:15], off offset:2512
	ds_read_b128 v[2:5], v252 offset:6720
	v_add_co_u32_e32 v14, vcc, s6, v0
	ds_write_b128 v252, v[10:13] offset:5040
	s_nop 0
	v_addc_co_u32_e32 v15, vcc, 0, v1, vcc
	s_mov_b32 s6, 0xa000
	s_waitcnt vmcnt(0) lgkmcnt(1)
	v_mul_f64 v[10:11], v[4:5], v[8:9]
	v_mul_f64 v[12:13], v[2:3], v[8:9]
	v_fma_f64 v[10:11], v[2:3], v[6:7], -v[10:11]
	v_fmac_f64_e32 v[12:13], v[4:5], v[6:7]
	global_load_dwordx4 v[6:9], v[14:15], off offset:96
	ds_read_b128 v[2:5], v252 offset:8400
	ds_write_b128 v252, v[10:13] offset:6720
	s_waitcnt vmcnt(0) lgkmcnt(1)
	v_mul_f64 v[10:11], v[4:5], v[8:9]
	v_mul_f64 v[12:13], v[2:3], v[8:9]
	v_fma_f64 v[10:11], v[2:3], v[6:7], -v[10:11]
	v_fmac_f64_e32 v[12:13], v[4:5], v[6:7]
	global_load_dwordx4 v[6:9], v[14:15], off offset:1776
	ds_read_b128 v[2:5], v252 offset:10080
	ds_write_b128 v252, v[10:13] offset:8400
	s_waitcnt vmcnt(0) lgkmcnt(1)
	v_mul_f64 v[10:11], v[4:5], v[8:9]
	v_mul_f64 v[12:13], v[2:3], v[8:9]
	v_fma_f64 v[10:11], v[2:3], v[6:7], -v[10:11]
	v_fmac_f64_e32 v[12:13], v[4:5], v[6:7]
	global_load_dwordx4 v[6:9], v[14:15], off offset:3456
	ds_read_b128 v[2:5], v252 offset:11760
	v_add_co_u32_e32 v14, vcc, s6, v0
	ds_write_b128 v252, v[10:13] offset:10080
	s_nop 0
	v_addc_co_u32_e32 v15, vcc, 0, v1, vcc
	s_mov_b32 s6, 0xb000
	s_waitcnt vmcnt(0) lgkmcnt(1)
	v_mul_f64 v[10:11], v[4:5], v[8:9]
	v_mul_f64 v[12:13], v[2:3], v[8:9]
	v_fma_f64 v[10:11], v[2:3], v[6:7], -v[10:11]
	v_fmac_f64_e32 v[12:13], v[4:5], v[6:7]
	global_load_dwordx4 v[6:9], v[14:15], off offset:1040
	ds_read_b128 v[2:5], v252 offset:13440
	ds_write_b128 v252, v[10:13] offset:11760
	s_waitcnt vmcnt(0) lgkmcnt(1)
	v_mul_f64 v[10:11], v[4:5], v[8:9]
	v_mul_f64 v[12:13], v[2:3], v[8:9]
	v_fma_f64 v[10:11], v[2:3], v[6:7], -v[10:11]
	v_fmac_f64_e32 v[12:13], v[4:5], v[6:7]
	global_load_dwordx4 v[6:9], v[14:15], off offset:2720
	ds_read_b128 v[2:5], v252 offset:15120
	v_add_co_u32_e32 v14, vcc, s6, v0
	ds_write_b128 v252, v[10:13] offset:13440
	s_nop 0
	v_addc_co_u32_e32 v15, vcc, 0, v1, vcc
	s_mov_b32 s6, 0xc000
	s_waitcnt vmcnt(0) lgkmcnt(1)
	v_mul_f64 v[10:11], v[4:5], v[8:9]
	v_mul_f64 v[12:13], v[2:3], v[8:9]
	v_fma_f64 v[10:11], v[2:3], v[6:7], -v[10:11]
	v_fmac_f64_e32 v[12:13], v[4:5], v[6:7]
	global_load_dwordx4 v[6:9], v[14:15], off offset:304
	ds_read_b128 v[2:5], v252 offset:16800
	ds_write_b128 v252, v[10:13] offset:15120
	s_waitcnt vmcnt(0) lgkmcnt(1)
	v_mul_f64 v[10:11], v[4:5], v[8:9]
	v_mul_f64 v[12:13], v[2:3], v[8:9]
	v_fma_f64 v[10:11], v[2:3], v[6:7], -v[10:11]
	v_fmac_f64_e32 v[12:13], v[4:5], v[6:7]
	global_load_dwordx4 v[6:9], v[14:15], off offset:1984
	ds_read_b128 v[2:5], v252 offset:18480
	ds_write_b128 v252, v[10:13] offset:16800
	s_waitcnt vmcnt(0) lgkmcnt(1)
	v_mul_f64 v[10:11], v[4:5], v[8:9]
	v_mul_f64 v[12:13], v[2:3], v[8:9]
	v_fma_f64 v[10:11], v[2:3], v[6:7], -v[10:11]
	v_fmac_f64_e32 v[12:13], v[4:5], v[6:7]
	global_load_dwordx4 v[6:9], v[14:15], off offset:3664
	ds_read_b128 v[2:5], v252 offset:20160
	v_add_co_u32_e32 v14, vcc, s6, v0
	ds_write_b128 v252, v[10:13] offset:18480
	s_nop 0
	v_addc_co_u32_e32 v15, vcc, 0, v1, vcc
	s_mov_b32 s6, 0xd000
	s_waitcnt vmcnt(0) lgkmcnt(1)
	v_mul_f64 v[10:11], v[4:5], v[8:9]
	v_mul_f64 v[12:13], v[2:3], v[8:9]
	v_fma_f64 v[10:11], v[2:3], v[6:7], -v[10:11]
	v_fmac_f64_e32 v[12:13], v[4:5], v[6:7]
	global_load_dwordx4 v[6:9], v[14:15], off offset:1248
	ds_read_b128 v[2:5], v252 offset:21840
	ds_write_b128 v252, v[10:13] offset:20160
	s_waitcnt vmcnt(0) lgkmcnt(1)
	v_mul_f64 v[10:11], v[4:5], v[8:9]
	v_mul_f64 v[12:13], v[2:3], v[8:9]
	v_fma_f64 v[10:11], v[2:3], v[6:7], -v[10:11]
	v_fmac_f64_e32 v[12:13], v[4:5], v[6:7]
	global_load_dwordx4 v[6:9], v[14:15], off offset:2928
	ds_read_b128 v[2:5], v252 offset:23520
	ds_write_b128 v252, v[10:13] offset:21840
	s_waitcnt vmcnt(0) lgkmcnt(1)
	v_mul_f64 v[10:11], v[4:5], v[8:9]
	v_mul_f64 v[12:13], v[2:3], v[8:9]
	v_fma_f64 v[10:11], v[2:3], v[6:7], -v[10:11]
	v_fmac_f64_e32 v[12:13], v[4:5], v[6:7]
	ds_write_b128 v252, v[10:13] offset:23520
	v_add_co_u32_e32 v10, vcc, s6, v0
	ds_read_b128 v[2:5], v252 offset:25200
	s_nop 0
	v_addc_co_u32_e32 v11, vcc, 0, v1, vcc
	global_load_dwordx4 v[6:9], v[10:11], off offset:512
	global_load_dwordx4 v[160:163], v[10:11], off offset:2192
	s_waitcnt vmcnt(1) lgkmcnt(0)
	v_mul_f64 v[0:1], v[4:5], v[8:9]
	v_fma_f64 v[0:1], v[2:3], v[6:7], -v[0:1]
	v_mul_f64 v[2:3], v[2:3], v[8:9]
	v_fmac_f64_e32 v[2:3], v[4:5], v[6:7]
	ds_write_b128 v252, v[0:3] offset:25200
	s_waitcnt vmcnt(0)
	v_mul_f64 v[0:1], v[78:79], v[162:163]
	v_mul_f64 v[2:3], v[76:77], v[162:163]
	v_fma_f64 v[0:1], v[76:77], v[160:161], -v[0:1]
	v_fmac_f64_e32 v[2:3], v[78:79], v[160:161]
	ds_write_b128 v252, v[0:3] offset:26880
.LBB0_13:
	s_or_b64 exec, exec, s[0:1]
	s_waitcnt lgkmcnt(0)
	s_barrier
	s_and_saveexec_b64 s[0:1], s[4:5]
	s_cbranch_execz .LBB0_15
; %bb.14:
	ds_read_b128 v[176:179], v60
	ds_read_b128 v[180:183], v60 offset:1680
	ds_read_b128 v[184:187], v60 offset:3360
	;; [unrolled: 1-line block ×16, first 2 shown]
.LBB0_15:
	s_or_b64 exec, exec, s[0:1]
	s_mov_b32 s28, 0x5d8e7cdc
	s_waitcnt lgkmcnt(0)
	v_add_f64 v[160:161], v[182:183], -v[250:251]
	s_mov_b32 s0, 0x370991
	s_mov_b32 s29, 0xbfd71e95
	;; [unrolled: 1-line block ×3, first 2 shown]
	v_add_f64 v[254:255], v[180:181], v[248:249]
	v_add_f64 v[102:103], v[182:183], v[250:251]
	s_mov_b32 s1, 0x3fedd6d0
	v_mul_f64 v[36:37], v[160:161], s[28:29]
	s_mov_b32 s16, 0x75d4884
	s_mov_b32 s35, 0xbfe58eea
	v_add_f64 v[162:163], v[186:187], -v[246:247]
	v_add_f64 v[92:93], v[180:181], -v[248:249]
	v_mul_f64 v[38:39], v[102:103], s[0:1]
	v_fma_f64 v[0:1], v[254:255], s[0:1], -v[36:37]
	s_mov_b32 s17, 0x3fe7a5f6
	v_add_f64 v[94:95], v[184:185], v[244:245]
	v_add_f64 v[130:131], v[186:187], v[246:247]
	v_mul_f64 v[40:41], v[162:163], s[34:35]
	s_mov_b32 s22, 0xeb564b22
	v_add_f64 v[0:1], v[176:177], v[0:1]
	v_fma_f64 v[2:3], s[28:29], v[92:93], v[38:39]
	v_mul_f64 v[44:45], v[160:161], s[34:35]
	v_add_f64 v[100:101], v[184:185], -v[244:245]
	v_mul_f64 v[42:43], v[130:131], s[16:17]
	v_fma_f64 v[8:9], v[94:95], s[16:17], -v[40:41]
	s_mov_b32 s18, 0x3259b75e
	s_mov_b32 s23, 0xbfefdd0d
	v_add_f64 v[2:3], v[178:179], v[2:3]
	v_mul_f64 v[48:49], v[102:103], s[16:17]
	v_fma_f64 v[4:5], v[254:255], s[16:17], -v[44:45]
	v_add_f64 v[0:1], v[8:9], v[0:1]
	v_fma_f64 v[8:9], s[34:35], v[100:101], v[42:43]
	s_mov_b32 s19, 0x3fb79ee6
	v_mul_f64 v[50:51], v[162:163], s[22:23]
	v_add_f64 v[4:5], v[176:177], v[4:5]
	v_fma_f64 v[6:7], s[34:35], v[92:93], v[48:49]
	v_add_f64 v[8:9], v[8:9], v[2:3]
	v_mul_f64 v[56:57], v[130:131], s[18:19]
	v_fma_f64 v[2:3], v[94:95], s[18:19], -v[50:51]
	s_mov_b32 s36, 0x7c9e640b
	v_add_f64 v[6:7], v[178:179], v[6:7]
	v_add_f64 v[4:5], v[2:3], v[4:5]
	v_fma_f64 v[2:3], s[22:23], v[100:101], v[56:57]
	v_add_f64 v[12:13], v[190:191], -v[242:243]
	s_mov_b32 s20, 0x2b2883cd
	s_mov_b32 s37, 0xbfeca52d
	v_add_f64 v[6:7], v[2:3], v[6:7]
	v_add_f64 v[104:105], v[188:189], v[240:241]
	;; [unrolled: 1-line block ×3, first 2 shown]
	s_mov_b32 s21, 0x3fdc86fa
	v_mul_f64 v[46:47], v[12:13], s[36:37]
	s_mov_b32 s26, 0x6c9a05f6
	v_add_f64 v[106:107], v[188:189], -v[240:241]
	v_mul_f64 v[52:53], v[2:3], s[20:21]
	v_fma_f64 v[10:11], v[104:105], s[20:21], -v[46:47]
	s_mov_b32 s30, 0x6ed5f1bb
	s_mov_b32 s27, 0xbfe9895b
	v_add_f64 v[0:1], v[10:11], v[0:1]
	v_fma_f64 v[10:11], s[36:37], v[106:107], v[52:53]
	s_mov_b32 s31, 0xbfe348c8
	v_mul_f64 v[62:63], v[12:13], s[26:27]
	v_add_f64 v[8:9], v[10:11], v[8:9]
	v_mul_f64 v[66:67], v[2:3], s[30:31]
	v_fma_f64 v[10:11], v[104:105], s[30:31], -v[62:63]
	v_add_f64 v[16:17], v[194:195], -v[230:231]
	v_add_f64 v[4:5], v[10:11], v[4:5]
	v_fma_f64 v[10:11], s[26:27], v[106:107], v[66:67]
	v_add_f64 v[128:129], v[192:193], v[228:229]
	v_add_f64 v[14:15], v[194:195], v[230:231]
	v_mul_f64 v[54:55], v[16:17], s[22:23]
	s_mov_b32 s24, 0x7faef3
	v_add_f64 v[6:7], v[10:11], v[6:7]
	v_add_f64 v[84:85], v[192:193], -v[228:229]
	v_mul_f64 v[58:59], v[14:15], s[18:19]
	v_fma_f64 v[10:11], v[128:129], s[18:19], -v[54:55]
	s_mov_b32 s25, 0xbfef7484
	s_mov_b32 s55, 0xbfc7851a
	;; [unrolled: 1-line block ×3, first 2 shown]
	v_add_f64 v[10:11], v[10:11], v[0:1]
	v_fma_f64 v[0:1], s[22:23], v[84:85], v[58:59]
	v_mul_f64 v[172:173], v[16:17], s[54:55]
	v_mul_f64 v[18:19], v[14:15], s[24:25]
	s_mov_b32 s42, 0x923c349f
	v_add_f64 v[8:9], v[0:1], v[8:9]
	v_fma_f64 v[0:1], v[128:129], s[24:25], -v[172:173]
	v_accvgpr_write_b32 a119, v19
	v_add_f64 v[20:21], v[198:199], -v[226:227]
	s_mov_b32 s38, 0xc61f0d01
	s_mov_b32 s43, 0xbfeec746
	v_add_f64 v[4:5], v[0:1], v[4:5]
	v_accvgpr_write_b32 a118, v18
	v_fma_f64 v[0:1], s[54:55], v[84:85], v[18:19]
	v_add_f64 v[86:87], v[196:197], v[224:225]
	v_add_f64 v[18:19], v[198:199], v[226:227]
	s_mov_b32 s39, 0xbfd183b1
	v_mul_f64 v[64:65], v[20:21], s[42:43]
	v_add_f64 v[6:7], v[0:1], v[6:7]
	v_add_f64 v[0:1], v[196:197], -v[224:225]
	v_mul_f64 v[174:175], v[18:19], s[38:39]
	v_fma_f64 v[22:23], v[86:87], s[38:39], -v[64:65]
	s_mov_b32 s44, 0x4363dd80
	v_add_f64 v[10:11], v[22:23], v[10:11]
	v_fma_f64 v[22:23], s[42:43], v[0:1], v[174:175]
	s_mov_b32 s40, 0x910ea3b9
	s_mov_b32 s45, 0x3fe0d888
	v_add_f64 v[8:9], v[22:23], v[8:9]
	s_mov_b32 s41, 0xbfeb34fa
	v_mul_f64 v[22:23], v[20:21], s[44:45]
	v_mul_f64 v[24:25], v[18:19], s[40:41]
	v_accvgpr_write_b32 a133, v23
	v_accvgpr_write_b32 a132, v22
	v_fma_f64 v[22:23], v[86:87], s[40:41], -v[22:23]
	v_accvgpr_write_b32 a141, v25
	v_add_f64 v[26:27], v[22:23], v[4:5]
	v_accvgpr_write_b32 a140, v24
	v_fma_f64 v[4:5], s[44:45], v[0:1], v[24:25]
	v_add_f64 v[24:25], v[202:203], -v[222:223]
	v_mul_f64 v[30:31], v[24:25], s[26:27]
	v_add_f64 v[28:29], v[4:5], v[6:7]
	v_add_f64 v[4:5], v[200:201], v[220:221]
	;; [unrolled: 1-line block ×3, first 2 shown]
	v_accvgpr_write_b32 a117, v31
	v_add_f64 v[6:7], v[200:201], -v[220:221]
	v_mul_f64 v[32:33], v[22:23], s[30:31]
	v_accvgpr_write_b32 a116, v30
	v_fma_f64 v[30:31], v[4:5], s[30:31], -v[30:31]
	v_add_f64 v[10:11], v[30:31], v[10:11]
	v_fma_f64 v[30:31], s[26:27], v[6:7], v[32:33]
	s_mov_b32 s47, 0x3feec746
	s_mov_b32 s46, s42
	v_add_f64 v[8:9], v[30:31], v[8:9]
	v_mul_f64 v[30:31], v[24:25], s[46:47]
	v_accvgpr_write_b32 a121, v33
	v_accvgpr_write_b32 a139, v31
	;; [unrolled: 1-line block ×3, first 2 shown]
	v_mul_f64 v[32:33], v[22:23], s[38:39]
	v_accvgpr_write_b32 a138, v30
	v_fma_f64 v[30:31], v[4:5], s[38:39], -v[30:31]
	v_add_f64 v[30:31], v[30:31], v[26:27]
	v_accvgpr_write_b32 a147, v33
	v_fma_f64 v[26:27], s[46:47], v[6:7], v[32:33]
	v_accvgpr_write_b32 a146, v32
	v_add_f64 v[32:33], v[26:27], v[28:29]
	v_add_f64 v[28:29], v[206:207], -v[218:219]
	s_mov_b32 s49, 0xbfe0d888
	s_mov_b32 s48, s44
	v_mul_f64 v[34:35], v[28:29], s[48:49]
	v_add_f64 v[164:165], v[204:205], v[216:217]
	v_add_f64 v[26:27], v[206:207], v[218:219]
	v_accvgpr_write_b32 a123, v35
	v_add_f64 v[166:167], v[204:205], -v[216:217]
	v_mul_f64 v[76:77], v[26:27], s[40:41]
	v_accvgpr_write_b32 a122, v34
	v_fma_f64 v[34:35], v[164:165], s[40:41], -v[34:35]
	v_add_f64 v[34:35], v[34:35], v[10:11]
	v_accvgpr_write_b32 a135, v77
	v_fma_f64 v[10:11], s[48:49], v[166:167], v[76:77]
	s_mov_b32 s51, 0x3feca52d
	s_mov_b32 s50, s36
	v_accvgpr_write_b32 a134, v76
	v_add_f64 v[76:77], v[10:11], v[8:9]
	v_mul_f64 v[8:9], v[28:29], s[50:51]
	v_accvgpr_write_b32 a145, v9
	v_mul_f64 v[10:11], v[26:27], s[20:21]
	v_accvgpr_write_b32 a144, v8
	v_fma_f64 v[8:9], v[164:165], s[20:21], -v[8:9]
	v_add_f64 v[78:79], v[8:9], v[30:31]
	v_fma_f64 v[8:9], s[50:51], v[166:167], v[10:11]
	v_add_f64 v[168:169], v[8:9], v[32:33]
	v_add_f64 v[32:33], v[210:211], -v[214:215]
	v_mul_f64 v[170:171], v[32:33], s[54:55]
	v_accvgpr_write_b32 a149, v11
	v_add_f64 v[8:9], v[208:209], v[212:213]
	v_add_f64 v[30:31], v[210:211], v[214:215]
	v_accvgpr_write_b32 a136, v170
	v_accvgpr_write_b32 a148, v10
	v_add_f64 v[10:11], v[208:209], -v[212:213]
	v_mul_f64 v[234:235], v[30:31], s[24:25]
	v_accvgpr_write_b32 a137, v171
	v_fma_f64 v[170:171], v[8:9], s[24:25], -v[170:171]
	v_add_f64 v[232:233], v[170:171], v[34:35]
	v_accvgpr_write_b32 a142, v234
	v_fma_f64 v[34:35], s[54:55], v[10:11], v[234:235]
	s_mov_b32 s53, 0x3fd71e95
	s_mov_b32 s52, s28
	v_accvgpr_write_b32 a143, v235
	v_add_f64 v[234:235], v[34:35], v[76:77]
	v_mul_f64 v[76:77], v[32:33], s[52:53]
	v_mul_f64 v[170:171], v[30:31], s[0:1]
	v_fma_f64 v[34:35], v[8:9], s[0:1], -v[76:77]
	v_add_f64 v[236:237], v[34:35], v[78:79]
	v_fma_f64 v[34:35], s[52:53], v[10:11], v[170:171]
	v_add_f64 v[238:239], v[34:35], v[168:169]
	s_barrier
	s_and_saveexec_b64 s[6:7], s[4:5]
	s_cbranch_execz .LBB0_17
; %bb.16:
	v_accvgpr_write_b32 a165, v53
	v_accvgpr_write_b32 a185, v49
	;; [unrolled: 1-line block ×3, first 2 shown]
	v_mul_f64 v[52:53], v[92:93], s[54:55]
	v_accvgpr_write_b32 a155, v55
	v_accvgpr_write_b32 a175, v45
	;; [unrolled: 1-line block ×3, first 2 shown]
	v_mul_f64 v[48:49], v[100:101], s[52:53]
	v_accvgpr_write_b32 a179, v51
	v_accvgpr_write_b32 a154, v54
	v_fma_f64 v[54:55], s[24:25], v[102:103], v[52:53]
	s_mov_b32 s57, 0x3fe58eea
	s_mov_b32 s56, s34
	v_accvgpr_write_b32 a151, v41
	v_accvgpr_write_b32 a174, v44
	v_mul_f64 v[44:45], v[106:107], s[48:49]
	v_accvgpr_write_b32 a153, v47
	v_accvgpr_write_b32 a178, v50
	v_fma_f64 v[50:51], s[0:1], v[130:131], v[48:49]
	v_add_f64 v[54:55], v[178:179], v[54:55]
	v_accvgpr_write_b32 a156, v174
	v_accvgpr_write_b32 a150, v40
	v_mul_f64 v[40:41], v[84:85], s[56:57]
	v_accvgpr_write_b32 a159, v43
	v_accvgpr_write_b32 a152, v46
	v_fma_f64 v[46:47], s[40:41], v[2:3], v[44:45]
	v_add_f64 v[50:51], v[50:51], v[54:55]
	v_accvgpr_write_b32 a181, v39
	v_accvgpr_write_b32 a187, v171
	;; [unrolled: 1-line block ×3, first 2 shown]
	v_mul_f64 v[174:175], v[0:1], s[26:27]
	v_accvgpr_write_b32 a171, v63
	v_accvgpr_write_b32 a158, v42
	v_fma_f64 v[42:43], s[16:17], v[14:15], v[40:41]
	v_add_f64 v[46:47], v[46:47], v[50:51]
	v_accvgpr_write_b32 a183, v59
	v_accvgpr_write_b32 a180, v38
	v_mul_f64 v[38:39], v[160:161], s[54:55]
	v_accvgpr_write_b32 a177, v65
	v_accvgpr_write_b32 a186, v170
	v_mul_f64 v[170:171], v[6:7], s[50:51]
	v_accvgpr_write_b32 a166, v172
	v_accvgpr_write_b32 a170, v62
	v_fma_f64 v[62:63], s[30:31], v[18:19], v[174:175]
	v_add_f64 v[42:43], v[42:43], v[46:47]
	v_accvgpr_write_b32 a189, v57
	v_accvgpr_write_b32 a182, v58
	v_mul_f64 v[58:59], v[162:163], s[52:53]
	v_accvgpr_write_b32 a173, v37
	v_accvgpr_write_b32 a176, v64
	v_fma_f64 v[64:65], v[254:255], s[24:25], -v[38:39]
	v_mul_f64 v[78:79], v[166:167], s[42:43]
	v_accvgpr_write_b32 a167, v173
	v_fma_f64 v[172:173], s[20:21], v[22:23], v[170:171]
	v_add_f64 v[42:43], v[62:63], v[42:43]
	v_accvgpr_write_b32 a188, v56
	v_mul_f64 v[56:57], v[12:13], s[48:49]
	v_accvgpr_write_b32 a172, v36
	v_fma_f64 v[36:37], v[94:95], s[0:1], -v[58:59]
	v_add_f64 v[64:65], v[176:177], v[64:65]
	s_mov_b32 s61, 0x3fefdd0d
	s_mov_b32 s60, s22
	v_fma_f64 v[168:169], s[38:39], v[26:27], v[78:79]
	v_add_f64 v[42:43], v[172:173], v[42:43]
	v_mul_f64 v[172:173], v[16:17], s[56:57]
	v_add_f64 v[36:37], v[36:37], v[64:65]
	v_fma_f64 v[64:65], v[104:105], s[40:41], -v[56:57]
	v_mul_f64 v[34:35], v[10:11], s[60:61]
	v_accvgpr_write_b32 a169, v77
	v_add_f64 v[42:43], v[168:169], v[42:43]
	v_mul_f64 v[168:169], v[20:21], s[26:27]
	v_add_f64 v[36:37], v[64:65], v[36:37]
	v_fma_f64 v[64:65], v[128:129], s[16:17], -v[172:173]
	v_fma_f64 v[52:53], v[102:103], s[24:25], -v[52:53]
	v_accvgpr_write_b32 a168, v76
	v_fma_f64 v[76:77], s[18:19], v[30:31], v[34:35]
	v_accvgpr_write_b32 a131, v71
	v_mul_f64 v[62:63], v[24:25], s[50:51]
	v_add_f64 v[36:37], v[64:65], v[36:37]
	v_fma_f64 v[64:65], v[86:87], s[30:31], -v[168:169]
	v_fma_f64 v[48:49], v[130:131], s[0:1], -v[48:49]
	v_add_f64 v[52:53], v[178:179], v[52:53]
	v_accvgpr_write_b32 a130, v70
	v_accvgpr_write_b32 a129, v69
	;; [unrolled: 1-line block ×3, first 2 shown]
	v_add_f64 v[70:71], v[76:77], v[42:43]
	v_mul_f64 v[50:51], v[28:29], s[42:43]
	v_fma_f64 v[76:77], v[4:5], s[20:21], -v[62:63]
	v_add_f64 v[36:37], v[64:65], v[36:37]
	v_fma_f64 v[44:45], v[2:3], s[40:41], -v[44:45]
	v_add_f64 v[48:49], v[48:49], v[52:53]
	v_mul_f64 v[42:43], v[32:33], s[60:61]
	v_fma_f64 v[54:55], v[164:165], s[38:39], -v[50:51]
	v_add_f64 v[36:37], v[76:77], v[36:37]
	v_fma_f64 v[40:41], v[14:15], s[16:17], -v[40:41]
	v_add_f64 v[44:45], v[44:45], v[48:49]
	;; [unrolled: 2-line block ×4, first 2 shown]
	v_add_f64 v[68:69], v[46:47], v[36:37]
	v_fma_f64 v[46:47], v[22:23], s[20:21], -v[170:171]
	v_add_f64 v[40:41], v[54:55], v[40:41]
	v_fma_f64 v[36:37], v[26:27], s[38:39], -v[78:79]
	;; [unrolled: 2-line block ×3, first 2 shown]
	v_add_f64 v[36:37], v[36:37], v[40:41]
	v_fmac_f64_e32 v[38:39], s[24:25], v[254:255]
	v_add_f64 v[36:37], v[34:35], v[36:37]
	v_fmac_f64_e32 v[58:59], s[0:1], v[94:95]
	;; [unrolled: 2-line block ×5, first 2 shown]
	v_add_f64 v[34:35], v[172:173], v[34:35]
	v_mul_f64 v[64:65], v[92:93], s[48:49]
	v_accvgpr_write_b32 a195, v67
	v_fmac_f64_e32 v[62:63], s[20:21], v[4:5]
	v_add_f64 v[34:35], v[168:169], v[34:35]
	v_mul_f64 v[58:59], v[100:101], s[50:51]
	v_accvgpr_write_b32 a194, v66
	v_fma_f64 v[66:67], s[40:41], v[102:103], v[64:65]
	v_fmac_f64_e32 v[50:51], s[38:39], v[164:165]
	v_add_f64 v[34:35], v[62:63], v[34:35]
	s_mov_b32 s59, 0x3fe9895b
	s_mov_b32 s58, s26
	v_mul_f64 v[54:55], v[106:107], s[22:23]
	v_fma_f64 v[62:63], s[20:21], v[130:131], v[58:59]
	v_add_f64 v[66:67], v[178:179], v[66:67]
	v_add_f64 v[34:35], v[50:51], v[34:35]
	v_mul_f64 v[50:51], v[84:85], s[58:59]
	v_fma_f64 v[56:57], s[18:19], v[2:3], v[54:55]
	v_add_f64 v[62:63], v[62:63], v[66:67]
	v_accvgpr_write_b32 a127, v71
	v_fmac_f64_e32 v[42:43], s[18:19], v[8:9]
	v_mul_f64 v[46:47], v[0:1], s[28:29]
	v_fma_f64 v[52:53], s[30:31], v[14:15], v[50:51]
	v_add_f64 v[56:57], v[56:57], v[62:63]
	v_mul_f64 v[66:67], v[160:161], s[48:49]
	v_accvgpr_write_b32 a126, v70
	v_accvgpr_write_b32 a125, v69
	v_accvgpr_write_b32 a124, v68
	v_accvgpr_read_b32 v68, a128
	v_add_f64 v[34:35], v[42:43], v[34:35]
	v_mul_f64 v[42:43], v[6:7], s[54:55]
	v_fma_f64 v[48:49], s[0:1], v[18:19], v[46:47]
	v_add_f64 v[52:53], v[52:53], v[56:57]
	v_mul_f64 v[56:57], v[162:163], s[50:51]
	v_fma_f64 v[76:77], v[254:255], s[40:41], -v[66:67]
	v_accvgpr_read_b32 v69, a129
	v_accvgpr_read_b32 v70, a130
	;; [unrolled: 1-line block ×3, first 2 shown]
	v_accvgpr_write_b32 a131, v37
	v_mul_f64 v[38:39], v[166:167], s[56:57]
	v_fma_f64 v[44:45], s[24:25], v[22:23], v[42:43]
	v_add_f64 v[48:49], v[48:49], v[52:53]
	v_mul_f64 v[52:53], v[12:13], s[22:23]
	v_fma_f64 v[62:63], v[94:95], s[20:21], -v[56:57]
	v_add_f64 v[76:77], v[176:177], v[76:77]
	v_accvgpr_write_b32 a130, v36
	v_accvgpr_write_b32 a129, v35
	;; [unrolled: 1-line block ×3, first 2 shown]
	v_mul_f64 v[34:35], v[10:11], s[42:43]
	v_fma_f64 v[40:41], s[16:17], v[26:27], v[38:39]
	v_add_f64 v[44:45], v[44:45], v[48:49]
	v_mul_f64 v[48:49], v[16:17], s[58:59]
	v_add_f64 v[62:63], v[62:63], v[76:77]
	v_fma_f64 v[76:77], v[104:105], s[18:19], -v[52:53]
	v_fma_f64 v[36:37], s[38:39], v[30:31], v[34:35]
	v_add_f64 v[40:41], v[40:41], v[44:45]
	v_mul_f64 v[44:45], v[20:21], s[28:29]
	v_add_f64 v[62:63], v[76:77], v[62:63]
	v_fma_f64 v[76:77], v[128:129], s[30:31], -v[48:49]
	v_add_f64 v[170:171], v[36:37], v[40:41]
	v_mul_f64 v[40:41], v[24:25], s[54:55]
	v_add_f64 v[62:63], v[76:77], v[62:63]
	v_fma_f64 v[76:77], v[86:87], s[0:1], -v[44:45]
	v_mul_f64 v[36:37], v[28:29], s[56:57]
	v_add_f64 v[62:63], v[76:77], v[62:63]
	v_fma_f64 v[76:77], v[4:5], s[24:25], -v[40:41]
	v_add_f64 v[62:63], v[76:77], v[62:63]
	v_fma_f64 v[76:77], v[164:165], s[16:17], -v[36:37]
	v_add_f64 v[62:63], v[76:77], v[62:63]
	v_mul_f64 v[76:77], v[32:33], s[42:43]
	v_fma_f64 v[78:79], v[8:9], s[38:39], -v[76:77]
	v_add_f64 v[168:169], v[78:79], v[62:63]
	v_fma_f64 v[62:63], v[102:103], s[40:41], -v[64:65]
	v_fma_f64 v[58:59], v[130:131], s[20:21], -v[58:59]
	v_add_f64 v[62:63], v[178:179], v[62:63]
	v_fma_f64 v[54:55], v[2:3], s[18:19], -v[54:55]
	v_add_f64 v[58:59], v[58:59], v[62:63]
	v_fma_f64 v[50:51], v[14:15], s[30:31], -v[50:51]
	v_add_f64 v[54:55], v[54:55], v[58:59]
	v_fma_f64 v[46:47], v[18:19], s[0:1], -v[46:47]
	v_add_f64 v[50:51], v[50:51], v[54:55]
	v_fma_f64 v[42:43], v[22:23], s[24:25], -v[42:43]
	v_add_f64 v[46:47], v[46:47], v[50:51]
	v_fma_f64 v[38:39], v[26:27], s[16:17], -v[38:39]
	v_add_f64 v[42:43], v[42:43], v[46:47]
	v_fma_f64 v[34:35], v[30:31], s[38:39], -v[34:35]
	v_add_f64 v[38:39], v[38:39], v[42:43]
	v_fmac_f64_e32 v[66:67], s[40:41], v[254:255]
	v_add_f64 v[38:39], v[34:35], v[38:39]
	v_fmac_f64_e32 v[56:57], s[20:21], v[94:95]
	v_add_f64 v[34:35], v[176:177], v[66:67]
	;; [unrolled: 2-line block ×5, first 2 shown]
	v_mul_f64 v[58:59], v[92:93], s[26:27]
	v_fmac_f64_e32 v[40:41], s[24:25], v[4:5]
	v_add_f64 v[34:35], v[44:45], v[34:35]
	v_mul_f64 v[54:55], v[100:101], s[46:47]
	v_fma_f64 v[62:63], s[30:31], v[102:103], v[58:59]
	v_fmac_f64_e32 v[36:37], s[16:17], v[164:165]
	v_add_f64 v[34:35], v[40:41], v[34:35]
	v_mul_f64 v[50:51], v[106:107], s[28:29]
	v_fma_f64 v[56:57], s[38:39], v[130:131], v[54:55]
	v_add_f64 v[62:63], v[178:179], v[62:63]
	v_fmac_f64_e32 v[76:77], s[38:39], v[8:9]
	v_add_f64 v[34:35], v[36:37], v[34:35]
	v_mul_f64 v[46:47], v[84:85], s[48:49]
	v_fma_f64 v[52:53], s[0:1], v[2:3], v[50:51]
	v_add_f64 v[56:57], v[56:57], v[62:63]
	v_add_f64 v[36:37], v[76:77], v[34:35]
	v_accvgpr_write_b32 a193, v39
	v_mul_f64 v[42:43], v[0:1], s[60:61]
	v_fma_f64 v[48:49], s[40:41], v[14:15], v[46:47]
	v_add_f64 v[52:53], v[52:53], v[56:57]
	v_mul_f64 v[62:63], v[160:161], s[26:27]
	v_accvgpr_write_b32 a192, v38
	v_accvgpr_write_b32 a191, v37
	;; [unrolled: 1-line block ×3, first 2 shown]
	v_mul_f64 v[38:39], v[6:7], s[34:35]
	v_fma_f64 v[44:45], s[18:19], v[18:19], v[42:43]
	v_add_f64 v[48:49], v[48:49], v[52:53]
	v_mul_f64 v[52:53], v[162:163], s[46:47]
	v_fma_f64 v[64:65], v[254:255], s[30:31], -v[62:63]
	v_mul_f64 v[34:35], v[166:167], s[54:55]
	v_fma_f64 v[40:41], s[16:17], v[22:23], v[38:39]
	v_add_f64 v[44:45], v[44:45], v[48:49]
	v_mul_f64 v[48:49], v[12:13], s[28:29]
	v_fma_f64 v[56:57], v[94:95], s[38:39], -v[52:53]
	v_add_f64 v[64:65], v[176:177], v[64:65]
	v_fma_f64 v[36:37], s[24:25], v[26:27], v[34:35]
	v_add_f64 v[40:41], v[40:41], v[44:45]
	v_mul_f64 v[44:45], v[16:17], s[48:49]
	v_add_f64 v[56:57], v[56:57], v[64:65]
	v_fma_f64 v[64:65], v[104:105], s[0:1], -v[48:49]
	v_add_f64 v[36:37], v[36:37], v[40:41]
	v_mul_f64 v[40:41], v[20:21], s[60:61]
	v_add_f64 v[56:57], v[64:65], v[56:57]
	v_fma_f64 v[64:65], v[128:129], s[40:41], -v[44:45]
	v_add_f64 v[56:57], v[64:65], v[56:57]
	v_fma_f64 v[64:65], v[86:87], s[18:19], -v[40:41]
	v_add_f64 v[56:57], v[64:65], v[56:57]
	v_mul_f64 v[64:65], v[24:25], s[34:35]
	v_fma_f64 v[66:67], v[4:5], s[16:17], -v[64:65]
	v_add_f64 v[56:57], v[66:67], v[56:57]
	v_mul_f64 v[66:67], v[28:29], s[54:55]
	;; [unrolled: 3-line block ×3, first 2 shown]
	v_accvgpr_write_b32 a160, v168
	v_fma_f64 v[78:79], s[20:21], v[30:31], v[76:77]
	v_accvgpr_write_b32 a161, v169
	v_accvgpr_write_b32 a162, v170
	;; [unrolled: 1-line block ×3, first 2 shown]
	v_add_f64 v[170:171], v[78:79], v[36:37]
	v_mul_f64 v[36:37], v[32:33], s[50:51]
	v_fma_f64 v[78:79], v[8:9], s[20:21], -v[36:37]
	v_add_f64 v[168:169], v[78:79], v[56:57]
	v_fma_f64 v[56:57], v[102:103], s[30:31], -v[58:59]
	v_fma_f64 v[54:55], v[130:131], s[38:39], -v[54:55]
	v_add_f64 v[56:57], v[178:179], v[56:57]
	v_add_f64 v[54:55], v[54:55], v[56:57]
	v_fma_f64 v[50:51], v[2:3], s[0:1], -v[50:51]
	v_add_f64 v[50:51], v[50:51], v[54:55]
	v_fma_f64 v[46:47], v[14:15], s[40:41], -v[46:47]
	;; [unrolled: 2-line block ×3, first 2 shown]
	v_fma_f64 v[38:39], v[22:23], s[16:17], -v[38:39]
	v_add_f64 v[42:43], v[42:43], v[46:47]
	v_fma_f64 v[34:35], v[26:27], s[24:25], -v[34:35]
	v_add_f64 v[38:39], v[38:39], v[42:43]
	;; [unrolled: 2-line block ×3, first 2 shown]
	v_fmac_f64_e32 v[62:63], s[30:31], v[254:255]
	v_add_f64 v[38:39], v[50:51], v[34:35]
	v_fmac_f64_e32 v[52:53], s[38:39], v[94:95]
	v_add_f64 v[34:35], v[176:177], v[62:63]
	;; [unrolled: 2-line block ×5, first 2 shown]
	v_mul_f64 v[52:53], v[92:93], s[42:43]
	v_fmac_f64_e32 v[64:65], s[16:17], v[4:5]
	v_add_f64 v[34:35], v[40:41], v[34:35]
	v_mul_f64 v[48:49], v[100:101], s[44:45]
	v_fma_f64 v[54:55], s[38:39], v[102:103], v[52:53]
	v_fmac_f64_e32 v[66:67], s[24:25], v[164:165]
	v_add_f64 v[34:35], v[64:65], v[34:35]
	v_mul_f64 v[46:47], v[106:107], s[56:57]
	v_fma_f64 v[50:51], s[40:41], v[130:131], v[48:49]
	v_add_f64 v[54:55], v[178:179], v[54:55]
	v_fmac_f64_e32 v[36:37], s[20:21], v[8:9]
	v_add_f64 v[34:35], v[66:67], v[34:35]
	v_mul_f64 v[44:45], v[84:85], s[36:37]
	v_add_f64 v[50:51], v[50:51], v[54:55]
	v_fma_f64 v[54:55], s[16:17], v[2:3], v[46:47]
	v_add_f64 v[36:37], v[36:37], v[34:35]
	v_accvgpr_write_b32 a203, v39
	v_mul_f64 v[42:43], v[0:1], s[54:55]
	v_add_f64 v[50:51], v[54:55], v[50:51]
	v_fma_f64 v[54:55], s[20:21], v[14:15], v[44:45]
	v_accvgpr_write_b32 a202, v38
	v_accvgpr_write_b32 a201, v37
	;; [unrolled: 1-line block ×3, first 2 shown]
	v_mul_f64 v[38:39], v[6:7], s[60:61]
	v_add_f64 v[50:51], v[54:55], v[50:51]
	v_fma_f64 v[54:55], s[24:25], v[18:19], v[42:43]
	v_mul_f64 v[34:35], v[166:167], s[28:29]
	v_fma_f64 v[40:41], s[18:19], v[22:23], v[38:39]
	v_add_f64 v[50:51], v[54:55], v[50:51]
	v_fma_f64 v[36:37], s[0:1], v[26:27], v[34:35]
	v_add_f64 v[40:41], v[40:41], v[50:51]
	v_mul_f64 v[50:51], v[160:161], s[42:43]
	v_add_f64 v[36:37], v[36:37], v[40:41]
	v_mul_f64 v[40:41], v[162:163], s[44:45]
	v_fma_f64 v[54:55], v[254:255], s[38:39], -v[50:51]
	v_add_f64 v[54:55], v[176:177], v[54:55]
	v_fma_f64 v[56:57], v[94:95], s[40:41], -v[40:41]
	v_add_f64 v[54:55], v[56:57], v[54:55]
	v_mul_f64 v[56:57], v[12:13], s[56:57]
	v_fma_f64 v[58:59], v[104:105], s[16:17], -v[56:57]
	v_add_f64 v[54:55], v[58:59], v[54:55]
	v_mul_f64 v[58:59], v[16:17], s[36:37]
	;; [unrolled: 3-line block ×4, first 2 shown]
	v_fma_f64 v[52:53], v[102:103], s[38:39], -v[52:53]
	v_fma_f64 v[66:67], v[4:5], s[18:19], -v[64:65]
	;; [unrolled: 1-line block ×3, first 2 shown]
	v_add_f64 v[52:53], v[178:179], v[52:53]
	v_add_f64 v[54:55], v[66:67], v[54:55]
	v_mul_f64 v[66:67], v[28:29], s[28:29]
	v_add_f64 v[48:49], v[48:49], v[52:53]
	v_fma_f64 v[46:47], v[2:3], s[16:17], -v[46:47]
	v_fma_f64 v[76:77], v[164:165], s[0:1], -v[66:67]
	v_add_f64 v[46:47], v[46:47], v[48:49]
	v_fma_f64 v[44:45], v[14:15], s[20:21], -v[44:45]
	v_add_f64 v[54:55], v[76:77], v[54:55]
	v_mul_f64 v[76:77], v[10:11], s[26:27]
	v_add_f64 v[44:45], v[44:45], v[46:47]
	v_fma_f64 v[42:43], v[18:19], s[24:25], -v[42:43]
	v_accvgpr_write_b32 a199, v171
	v_fma_f64 v[78:79], s[30:31], v[30:31], v[76:77]
	v_add_f64 v[42:43], v[42:43], v[44:45]
	v_fma_f64 v[38:39], v[22:23], s[18:19], -v[38:39]
	v_accvgpr_write_b32 a198, v170
	v_accvgpr_write_b32 a197, v169
	v_accvgpr_write_b32 a196, v168
	v_add_f64 v[170:171], v[78:79], v[36:37]
	v_mul_f64 v[36:37], v[32:33], s[26:27]
	v_add_f64 v[38:39], v[38:39], v[42:43]
	v_fma_f64 v[34:35], v[26:27], s[0:1], -v[34:35]
	v_fmac_f64_e32 v[50:51], s[38:39], v[254:255]
	v_fma_f64 v[78:79], v[8:9], s[30:31], -v[36:37]
	v_add_f64 v[34:35], v[34:35], v[38:39]
	v_fmac_f64_e32 v[40:41], s[40:41], v[94:95]
	v_add_f64 v[38:39], v[176:177], v[50:51]
	v_add_f64 v[168:169], v[78:79], v[54:55]
	v_accvgpr_write_b32 a207, v171
	v_add_f64 v[38:39], v[40:41], v[38:39]
	v_fma_f64 v[40:41], v[30:31], s[30:31], -v[76:77]
	v_fmac_f64_e32 v[56:57], s[16:17], v[104:105]
	v_accvgpr_write_b32 a206, v170
	v_accvgpr_write_b32 a205, v169
	;; [unrolled: 1-line block ×3, first 2 shown]
	v_add_f64 v[170:171], v[40:41], v[34:35]
	v_fmac_f64_e32 v[58:59], s[20:21], v[128:129]
	v_add_f64 v[34:35], v[56:57], v[38:39]
	v_fmac_f64_e32 v[62:63], s[24:25], v[86:87]
	;; [unrolled: 2-line block ×3, first 2 shown]
	v_add_f64 v[34:35], v[62:63], v[34:35]
	v_mul_f64 v[44:45], v[92:93], s[22:23]
	v_fmac_f64_e32 v[66:67], s[0:1], v[164:165]
	v_add_f64 v[34:35], v[64:65], v[34:35]
	v_mul_f64 v[40:41], v[100:101], s[54:55]
	v_fma_f64 v[46:47], s[18:19], v[102:103], v[44:45]
	v_fmac_f64_e32 v[36:37], s[30:31], v[8:9]
	v_add_f64 v[34:35], v[66:67], v[34:35]
	v_mul_f64 v[38:39], v[106:107], s[46:47]
	v_fma_f64 v[42:43], s[24:25], v[130:131], v[40:41]
	v_add_f64 v[46:47], v[178:179], v[46:47]
	v_add_f64 v[168:169], v[36:37], v[34:35]
	v_mul_f64 v[36:37], v[84:85], s[52:53]
	v_add_f64 v[42:43], v[42:43], v[46:47]
	v_fma_f64 v[46:47], s[38:39], v[2:3], v[38:39]
	v_mul_f64 v[34:35], v[0:1], s[36:37]
	v_add_f64 v[42:43], v[46:47], v[42:43]
	v_fma_f64 v[46:47], s[0:1], v[14:15], v[36:37]
	v_add_f64 v[42:43], v[46:47], v[42:43]
	v_fma_f64 v[46:47], s[20:21], v[18:19], v[34:35]
	v_add_f64 v[42:43], v[46:47], v[42:43]
	v_mul_f64 v[46:47], v[6:7], s[48:49]
	v_fma_f64 v[48:49], s[40:41], v[22:23], v[46:47]
	v_add_f64 v[42:43], v[48:49], v[42:43]
	v_mul_f64 v[48:49], v[166:167], s[58:59]
	;; [unrolled: 3-line block ×3, first 2 shown]
	v_fma_f64 v[52:53], v[254:255], s[18:19], -v[50:51]
	v_mul_f64 v[54:55], v[162:163], s[54:55]
	v_add_f64 v[52:53], v[176:177], v[52:53]
	v_fma_f64 v[56:57], v[94:95], s[24:25], -v[54:55]
	v_fma_f64 v[44:45], v[102:103], s[18:19], -v[44:45]
	v_add_f64 v[52:53], v[56:57], v[52:53]
	v_mul_f64 v[56:57], v[12:13], s[46:47]
	v_fma_f64 v[40:41], v[130:131], s[24:25], -v[40:41]
	v_add_f64 v[44:45], v[178:179], v[44:45]
	v_fma_f64 v[58:59], v[104:105], s[38:39], -v[56:57]
	v_add_f64 v[40:41], v[40:41], v[44:45]
	;; [unrolled: 2-line block ×3, first 2 shown]
	v_mul_f64 v[58:59], v[16:17], s[52:53]
	v_add_f64 v[38:39], v[38:39], v[40:41]
	v_fma_f64 v[36:37], v[14:15], s[0:1], -v[36:37]
	v_fma_f64 v[62:63], v[128:129], s[0:1], -v[58:59]
	v_add_f64 v[36:37], v[36:37], v[38:39]
	v_fma_f64 v[34:35], v[18:19], s[20:21], -v[34:35]
	v_add_f64 v[52:53], v[62:63], v[52:53]
	v_mul_f64 v[62:63], v[20:21], s[36:37]
	v_add_f64 v[34:35], v[34:35], v[36:37]
	v_fma_f64 v[36:37], v[22:23], s[40:41], -v[46:47]
	v_fma_f64 v[64:65], v[86:87], s[20:21], -v[62:63]
	v_add_f64 v[34:35], v[36:37], v[34:35]
	v_fma_f64 v[36:37], v[26:27], s[30:31], -v[48:49]
	v_fmac_f64_e32 v[50:51], s[18:19], v[254:255]
	v_add_f64 v[52:53], v[64:65], v[52:53]
	v_mul_f64 v[64:65], v[24:25], s[48:49]
	v_add_f64 v[34:35], v[36:37], v[34:35]
	v_fmac_f64_e32 v[54:55], s[24:25], v[94:95]
	v_add_f64 v[36:37], v[176:177], v[50:51]
	v_fma_f64 v[66:67], v[4:5], s[40:41], -v[64:65]
	v_add_f64 v[36:37], v[54:55], v[36:37]
	v_fmac_f64_e32 v[56:57], s[38:39], v[104:105]
	v_add_f64 v[52:53], v[66:67], v[52:53]
	v_mul_f64 v[66:67], v[28:29], s[58:59]
	v_add_f64 v[36:37], v[56:57], v[36:37]
	v_fmac_f64_e32 v[58:59], s[0:1], v[128:129]
	v_fma_f64 v[76:77], v[164:165], s[30:31], -v[66:67]
	v_mul_f64 v[172:173], v[10:11], s[56:57]
	v_add_f64 v[36:37], v[58:59], v[36:37]
	v_fmac_f64_e32 v[62:63], s[20:21], v[86:87]
	v_add_f64 v[52:53], v[76:77], v[52:53]
	v_fma_f64 v[76:77], s[16:17], v[30:31], v[172:173]
	v_add_f64 v[36:37], v[62:63], v[36:37]
	v_fmac_f64_e32 v[64:65], s[40:41], v[4:5]
	v_add_f64 v[78:79], v[76:77], v[42:43]
	v_mul_f64 v[42:43], v[32:33], s[56:57]
	v_add_f64 v[36:37], v[64:65], v[36:37]
	v_fma_f64 v[38:39], v[30:31], s[16:17], -v[172:173]
	v_fmac_f64_e32 v[66:67], s[30:31], v[164:165]
	v_fma_f64 v[76:77], v[8:9], s[16:17], -v[42:43]
	v_add_f64 v[174:175], v[38:39], v[34:35]
	v_fmac_f64_e32 v[42:43], s[16:17], v[8:9]
	v_add_f64 v[34:35], v[66:67], v[36:37]
	v_mul_f64 v[36:37], v[92:93], s[36:37]
	v_add_f64 v[172:173], v[42:43], v[34:35]
	v_mul_f64 v[34:35], v[100:101], s[26:27]
	v_fma_f64 v[38:39], s[20:21], v[102:103], v[36:37]
	v_add_f64 v[38:39], v[178:179], v[38:39]
	v_fma_f64 v[40:41], s[30:31], v[130:131], v[34:35]
	v_add_f64 v[38:39], v[40:41], v[38:39]
	v_mul_f64 v[40:41], v[84:85], s[54:55]
	v_mul_f64 v[42:43], v[10:11], s[54:55]
	s_mov_b32 s55, 0x3fc7851a
	v_mul_f64 v[44:45], v[106:107], s[54:55]
	v_fma_f64 v[46:47], s[24:25], v[2:3], v[44:45]
	v_add_f64 v[38:39], v[46:47], v[38:39]
	v_mul_f64 v[46:47], v[84:85], s[46:47]
	v_fma_f64 v[48:49], s[38:39], v[14:15], v[46:47]
	v_add_f64 v[38:39], v[48:49], v[38:39]
	;; [unrolled: 3-line block ×3, first 2 shown]
	v_mul_f64 v[50:51], v[6:7], s[28:29]
	v_add_f64 v[76:77], v[76:77], v[52:53]
	v_fma_f64 v[52:53], s[0:1], v[22:23], v[50:51]
	v_add_f64 v[38:39], v[52:53], v[38:39]
	v_mul_f64 v[52:53], v[166:167], s[22:23]
	v_fma_f64 v[54:55], s[18:19], v[26:27], v[52:53]
	v_mul_f64 v[56:57], v[160:161], s[36:37]
	v_add_f64 v[38:39], v[54:55], v[38:39]
	v_mul_f64 v[54:55], v[162:163], s[26:27]
	v_fma_f64 v[58:59], v[254:255], s[20:21], -v[56:57]
	v_add_f64 v[58:59], v[176:177], v[58:59]
	v_fma_f64 v[62:63], v[94:95], s[30:31], -v[54:55]
	v_mul_f64 v[12:13], v[12:13], s[54:55]
	v_add_f64 v[58:59], v[62:63], v[58:59]
	v_fma_f64 v[62:63], v[104:105], s[24:25], -v[12:13]
	v_mul_f64 v[16:17], v[16:17], s[46:47]
	;; [unrolled: 3-line block ×4, first 2 shown]
	v_fmac_f64_e32 v[56:57], s[20:21], v[254:255]
	v_add_f64 v[58:59], v[62:63], v[58:59]
	v_fma_f64 v[62:63], v[4:5], s[0:1], -v[24:25]
	v_mul_f64 v[28:29], v[28:29], s[22:23]
	v_fma_f64 v[18:19], v[18:19], s[16:17], -v[48:49]
	v_fmac_f64_e32 v[54:55], s[30:31], v[94:95]
	v_add_f64 v[48:49], v[176:177], v[56:57]
	v_add_f64 v[58:59], v[62:63], v[58:59]
	v_fma_f64 v[62:63], v[164:165], s[18:19], -v[28:29]
	v_add_f64 v[48:49], v[54:55], v[48:49]
	v_fmac_f64_e32 v[12:13], s[24:25], v[104:105]
	v_add_f64 v[58:59], v[62:63], v[58:59]
	v_mul_f64 v[62:63], v[10:11], s[48:49]
	v_add_f64 v[12:13], v[12:13], v[48:49]
	v_fmac_f64_e32 v[16:17], s[38:39], v[128:129]
	v_fma_f64 v[64:65], s[40:41], v[30:31], v[62:63]
	v_fma_f64 v[30:31], v[30:31], s[40:41], -v[62:63]
	v_add_f64 v[12:13], v[16:17], v[12:13]
	v_mul_f64 v[16:17], v[86:87], s[38:39]
	v_fmac_f64_e32 v[20:21], s[16:17], v[86:87]
	v_mul_f64 v[62:63], v[86:87], s[40:41]
	v_accvgpr_read_b32 v86, a148
	v_mul_f64 v[66:67], v[166:167], s[50:51]
	v_accvgpr_read_b32 v87, a149
	v_add_f64 v[12:13], v[20:21], v[12:13]
	v_fmac_f64_e32 v[24:25], s[0:1], v[4:5]
	v_add_f64 v[66:67], v[86:87], -v[66:67]
	v_accvgpr_read_b32 v86, a146
	v_add_f64 v[162:163], v[64:65], v[38:39]
	v_mul_f64 v[20:21], v[0:1], s[42:43]
	v_mul_f64 v[64:65], v[0:1], s[44:45]
	v_add_f64 v[0:1], v[24:25], v[12:13]
	v_mul_f64 v[24:25], v[6:7], s[26:27]
	v_mul_f64 v[6:7], v[6:7], s[46:47]
	v_accvgpr_read_b32 v87, a147
	v_add_f64 v[6:7], v[86:87], -v[6:7]
	v_accvgpr_read_b32 v86, a140
	v_accvgpr_read_b32 v87, a141
	v_add_f64 v[64:65], v[86:87], -v[64:65]
	v_accvgpr_read_b32 v86, a118
	;; [unrolled: 3-line block ×3, first 2 shown]
	v_mul_f64 v[54:55], v[106:107], s[26:27]
	v_accvgpr_read_b32 v87, a195
	v_add_f64 v[54:55], v[86:87], -v[54:55]
	v_accvgpr_read_b32 v86, a188
	v_fma_f64 v[2:3], v[2:3], s[24:25], -v[44:45]
	v_fma_f64 v[36:37], v[102:103], s[20:21], -v[36:37]
	v_mul_f64 v[44:45], v[100:101], s[22:23]
	v_accvgpr_read_b32 v87, a189
	v_fma_f64 v[34:35], v[130:131], s[30:31], -v[34:35]
	v_add_f64 v[36:37], v[178:179], v[36:37]
	v_add_f64 v[44:45], v[86:87], -v[44:45]
	v_accvgpr_read_b32 v86, a184
	v_add_f64 v[34:35], v[34:35], v[36:37]
	v_mul_f64 v[36:37], v[92:93], s[34:35]
	v_accvgpr_read_b32 v87, a185
	v_add_f64 v[36:37], v[86:87], -v[36:37]
	v_add_f64 v[36:37], v[178:179], v[36:37]
	v_add_f64 v[36:37], v[44:45], v[36:37]
	;; [unrolled: 1-line block ×4, first 2 shown]
	v_mul_f64 v[56:57], v[84:85], s[22:23]
	v_accvgpr_read_b32 v84, a186
	v_add_f64 v[36:37], v[64:65], v[36:37]
	v_mul_f64 v[10:11], v[10:11], s[52:53]
	v_accvgpr_read_b32 v85, a187
	v_add_f64 v[6:7], v[6:7], v[36:37]
	v_mul_f64 v[32:33], v[32:33], s[48:49]
	v_add_f64 v[10:11], v[84:85], -v[10:11]
	v_add_f64 v[6:7], v[66:67], v[6:7]
	v_fma_f64 v[38:39], v[8:9], s[40:41], -v[32:33]
	v_add_f64 v[6:7], v[10:11], v[6:7]
	v_accvgpr_read_b32 v10, a168
	v_accvgpr_read_b32 v44, a178
	v_add_f64 v[160:161], v[38:39], v[58:59]
	v_fma_f64 v[14:15], v[14:15], s[38:39], -v[46:47]
	v_add_f64 v[2:3], v[2:3], v[34:35]
	v_mul_f64 v[38:39], v[94:95], s[18:19]
	v_fmac_f64_e32 v[28:29], s[18:19], v[164:165]
	v_fmac_f64_e32 v[32:33], s[40:41], v[8:9]
	v_mul_f64 v[84:85], v[8:9], s[24:25]
	v_mul_f64 v[8:9], v[8:9], s[0:1]
	v_accvgpr_read_b32 v11, a169
	v_accvgpr_read_b32 v45, a179
	v_add_f64 v[2:3], v[14:15], v[2:3]
	v_add_f64 v[0:1], v[28:29], v[0:1]
	;; [unrolled: 1-line block ×3, first 2 shown]
	v_accvgpr_read_b32 v10, a144
	v_add_f64 v[38:39], v[38:39], v[44:45]
	v_accvgpr_read_b32 v44, a174
	v_add_f64 v[2:3], v[18:19], v[2:3]
	v_mul_f64 v[18:19], v[254:255], s[16:17]
	v_add_f64 v[0:1], v[32:33], v[0:1]
	v_mul_f64 v[32:33], v[164:165], s[20:21]
	v_accvgpr_read_b32 v11, a145
	v_accvgpr_read_b32 v45, a175
	v_add_f64 v[10:11], v[32:33], v[10:11]
	v_accvgpr_read_b32 v32, a138
	v_accvgpr_read_b32 v40, a170
	v_add_f64 v[18:19], v[18:19], v[44:45]
	v_fma_f64 v[26:27], v[26:27], s[18:19], -v[52:53]
	v_mul_f64 v[52:53], v[104:105], s[30:31]
	v_mul_f64 v[12:13], v[4:5], s[30:31]
	;; [unrolled: 1-line block ×3, first 2 shown]
	v_accvgpr_read_b32 v33, a139
	v_accvgpr_read_b32 v36, a166
	v_accvgpr_read_b32 v41, a171
	v_add_f64 v[18:19], v[176:177], v[18:19]
	v_mul_f64 v[58:59], v[128:129], s[24:25]
	v_add_f64 v[4:5], v[4:5], v[32:33]
	v_accvgpr_read_b32 v32, a132
	v_accvgpr_read_b32 v37, a167
	v_add_f64 v[40:41], v[52:53], v[40:41]
	v_add_f64 v[18:19], v[38:39], v[18:19]
	v_accvgpr_read_b32 v33, a133
	v_add_f64 v[36:37], v[58:59], v[36:37]
	v_add_f64 v[18:19], v[40:41], v[18:19]
	v_fma_f64 v[22:23], v[22:23], s[0:1], -v[50:51]
	v_add_f64 v[32:33], v[62:63], v[32:33]
	v_add_f64 v[18:19], v[36:37], v[18:19]
	;; [unrolled: 1-line block ×4, first 2 shown]
	v_accvgpr_read_b32 v32, a158
	v_add_f64 v[2:3], v[26:27], v[2:3]
	v_mul_f64 v[26:27], v[100:101], s[34:35]
	v_add_f64 v[4:5], v[4:5], v[18:19]
	v_accvgpr_read_b32 v18, a120
	v_accvgpr_read_b32 v33, a159
	v_add_f64 v[4:5], v[10:11], v[4:5]
	v_accvgpr_read_b32 v10, a134
	v_accvgpr_read_b32 v19, a121
	v_add_f64 v[26:27], v[32:33], -v[26:27]
	v_accvgpr_read_b32 v32, a180
	v_mul_f64 v[14:15], v[92:93], s[28:29]
	v_add_f64 v[2:3], v[30:31], v[2:3]
	v_mul_f64 v[30:31], v[166:167], s[48:49]
	v_accvgpr_read_b32 v11, a135
	v_add_f64 v[18:19], v[18:19], -v[24:25]
	v_accvgpr_read_b32 v24, a156
	v_accvgpr_read_b32 v33, a181
	v_add_f64 v[10:11], v[10:11], -v[30:31]
	v_accvgpr_read_b32 v25, a157
	v_accvgpr_read_b32 v30, a164
	v_add_f64 v[14:15], v[32:33], -v[14:15]
	v_mul_f64 v[50:51], v[106:107], s[36:37]
	v_add_f64 v[20:21], v[24:25], -v[20:21]
	v_accvgpr_read_b32 v24, a182
	v_accvgpr_read_b32 v31, a165
	v_add_f64 v[14:15], v[178:179], v[14:15]
	v_accvgpr_read_b32 v25, a183
	v_add_f64 v[30:31], v[30:31], -v[50:51]
	v_add_f64 v[14:15], v[26:27], v[14:15]
	v_add_f64 v[24:25], v[24:25], -v[56:57]
	v_add_f64 v[14:15], v[30:31], v[14:15]
	v_add_f64 v[14:15], v[24:25], v[14:15]
	;; [unrolled: 1-line block ×3, first 2 shown]
	v_accvgpr_read_b32 v24, a150
	v_mul_f64 v[22:23], v[94:95], s[16:17]
	v_add_f64 v[14:15], v[18:19], v[14:15]
	v_accvgpr_read_b32 v18, a116
	v_accvgpr_read_b32 v25, a151
	;; [unrolled: 1-line block ×3, first 2 shown]
	v_add_f64 v[22:23], v[22:23], v[24:25]
	v_accvgpr_read_b32 v24, a172
	v_mul_f64 v[34:35], v[254:255], s[0:1]
	v_add_f64 v[12:13], v[12:13], v[18:19]
	v_accvgpr_read_b32 v18, a176
	v_accvgpr_read_b32 v25, a173
	;; [unrolled: 1-line block ×4, first 2 shown]
	v_add_f64 v[24:25], v[34:35], v[24:25]
	v_mul_f64 v[46:47], v[104:105], s[20:21]
	v_add_f64 v[16:17], v[16:17], v[18:19]
	v_accvgpr_read_b32 v18, a154
	v_accvgpr_read_b32 v21, a153
	v_add_f64 v[24:25], v[176:177], v[24:25]
	v_mul_f64 v[48:49], v[128:129], s[18:19]
	v_add_f64 v[4:5], v[8:9], v[4:5]
	v_accvgpr_read_b32 v8, a142
	v_accvgpr_read_b32 v19, a155
	v_add_f64 v[20:21], v[46:47], v[20:21]
	v_add_f64 v[22:23], v[22:23], v[24:25]
	v_accvgpr_read_b32 v9, a143
	v_add_f64 v[18:19], v[48:49], v[18:19]
	v_add_f64 v[20:21], v[20:21], v[22:23]
	v_add_f64 v[8:9], v[8:9], -v[42:43]
	v_add_f64 v[10:11], v[10:11], v[14:15]
	v_accvgpr_read_b32 v14, a122
	v_add_f64 v[18:19], v[18:19], v[20:21]
	v_mul_f64 v[28:29], v[164:165], s[40:41]
	v_add_f64 v[10:11], v[8:9], v[10:11]
	v_accvgpr_read_b32 v8, a136
	v_accvgpr_read_b32 v15, a123
	v_add_f64 v[16:17], v[16:17], v[18:19]
	v_accvgpr_read_b32 v9, a137
	v_add_f64 v[14:15], v[28:29], v[14:15]
	v_add_f64 v[12:13], v[12:13], v[16:17]
	;; [unrolled: 1-line block ×35, first 2 shown]
	v_accvgpr_read_b32 v16, a0
	v_add_f64 v[12:13], v[12:13], v[244:245]
	v_mul_lo_u16_e32 v16, 17, v16
	v_add_f64 v[12:13], v[12:13], v[248:249]
	v_lshlrev_b32_e32 v16, 4, v16
	ds_write_b128 v16, v[12:15]
	ds_write_b128 v16, v[8:11] offset:16
	ds_write_b128 v16, v[4:7] offset:32
	;; [unrolled: 1-line block ×16, first 2 shown]
.LBB0_17:
	s_or_b64 exec, exec, s[6:7]
	v_accvgpr_read_b32 v41, a11
	s_waitcnt lgkmcnt(0)
	s_barrier
	ds_read_b128 v[76:79], v60
	ds_read_b128 v[164:167], v60 offset:1904
	ds_read_b128 v[0:3], v60 offset:19040
	ds_read_b128 v[4:7], v60 offset:20944
	ds_read_b128 v[8:11], v60 offset:11424
	ds_read_b128 v[12:15], v60 offset:13328
	ds_read_b128 v[168:171], v60 offset:3808
	ds_read_b128 v[160:163], v60 offset:5712
	ds_read_b128 v[16:19], v60 offset:22848
	ds_read_b128 v[20:23], v60 offset:24752
	ds_read_b128 v[24:27], v60 offset:9520
	ds_read_b128 v[172:175], v60 offset:7616
	ds_read_b128 v[28:31], v60 offset:15232
	ds_read_b128 v[32:35], v60 offset:17136
	ds_read_b128 v[84:87], v60 offset:26656
	v_accvgpr_read_b32 v40, a10
	v_accvgpr_read_b32 v39, a9
	;; [unrolled: 1-line block ×3, first 2 shown]
	s_waitcnt lgkmcnt(4)
	v_mul_f64 v[36:37], v[40:41], v[26:27]
	v_fmac_f64_e32 v[36:37], v[38:39], v[24:25]
	v_mul_f64 v[24:25], v[40:41], v[24:25]
	v_fma_f64 v[24:25], v[38:39], v[26:27], -v[24:25]
	v_accvgpr_read_b32 v41, a7
	v_accvgpr_read_b32 v40, a6
	;; [unrolled: 1-line block ×4, first 2 shown]
	v_mul_f64 v[26:27], v[40:41], v[2:3]
	v_accvgpr_read_b32 v45, a19
	v_fmac_f64_e32 v[26:27], v[38:39], v[0:1]
	v_mul_f64 v[0:1], v[40:41], v[0:1]
	v_accvgpr_read_b32 v44, a18
	v_fma_f64 v[38:39], v[38:39], v[2:3], -v[0:1]
	v_accvgpr_read_b32 v43, a17
	v_accvgpr_read_b32 v42, a16
	v_mul_f64 v[40:41], v[44:45], v[10:11]
	v_mul_f64 v[0:1], v[44:45], v[8:9]
	v_fmac_f64_e32 v[40:41], v[42:43], v[8:9]
	v_fma_f64 v[42:43], v[42:43], v[10:11], -v[0:1]
	v_accvgpr_read_b32 v8, a12
	v_accvgpr_read_b32 v10, a14
	;; [unrolled: 1-line block ×4, first 2 shown]
	v_mul_f64 v[44:45], v[10:11], v[6:7]
	v_fmac_f64_e32 v[44:45], v[8:9], v[4:5]
	v_mul_f64 v[0:1], v[10:11], v[4:5]
	v_accvgpr_read_b32 v2, a24
	v_accvgpr_read_b32 v4, a26
	;; [unrolled: 1-line block ×3, first 2 shown]
	v_fma_f64 v[46:47], v[8:9], v[6:7], -v[0:1]
	v_accvgpr_read_b32 v3, a25
	v_mul_f64 v[48:49], v[4:5], v[14:15]
	v_mul_f64 v[0:1], v[4:5], v[12:13]
	v_fmac_f64_e32 v[48:49], v[2:3], v[12:13]
	v_fma_f64 v[50:51], v[2:3], v[14:15], -v[0:1]
	v_accvgpr_read_b32 v2, a20
	v_accvgpr_read_b32 v4, a22
	;; [unrolled: 1-line block ×4, first 2 shown]
	v_mul_f64 v[52:53], v[4:5], v[18:19]
	v_mul_f64 v[0:1], v[4:5], v[16:17]
	v_fmac_f64_e32 v[52:53], v[2:3], v[16:17]
	v_fma_f64 v[54:55], v[2:3], v[18:19], -v[0:1]
	v_accvgpr_read_b32 v2, a32
	v_accvgpr_read_b32 v4, a34
	;; [unrolled: 1-line block ×4, first 2 shown]
	s_waitcnt lgkmcnt(2)
	v_mul_f64 v[56:57], v[4:5], v[30:31]
	v_mul_f64 v[0:1], v[4:5], v[28:29]
	v_fmac_f64_e32 v[56:57], v[2:3], v[28:29]
	v_fma_f64 v[30:31], v[2:3], v[30:31], -v[0:1]
	v_accvgpr_read_b32 v2, a28
	v_accvgpr_read_b32 v4, a30
	;; [unrolled: 1-line block ×4, first 2 shown]
	v_mul_f64 v[58:59], v[4:5], v[22:23]
	v_mul_f64 v[0:1], v[4:5], v[20:21]
	v_fmac_f64_e32 v[58:59], v[2:3], v[20:21]
	v_fma_f64 v[62:63], v[2:3], v[22:23], -v[0:1]
	v_accvgpr_read_b32 v2, a40
	v_accvgpr_read_b32 v4, a42
	;; [unrolled: 1-line block ×4, first 2 shown]
	s_waitcnt lgkmcnt(1)
	v_mul_f64 v[64:65], v[4:5], v[34:35]
	v_mul_f64 v[0:1], v[4:5], v[32:33]
	v_fmac_f64_e32 v[64:65], v[2:3], v[32:33]
	v_fma_f64 v[66:67], v[2:3], v[34:35], -v[0:1]
	v_accvgpr_read_b32 v2, a36
	v_accvgpr_read_b32 v4, a38
	;; [unrolled: 1-line block ×4, first 2 shown]
	s_waitcnt lgkmcnt(0)
	v_mul_f64 v[92:93], v[4:5], v[86:87]
	v_mul_f64 v[0:1], v[4:5], v[84:85]
	v_fmac_f64_e32 v[92:93], v[2:3], v[84:85]
	v_fma_f64 v[86:87], v[2:3], v[86:87], -v[0:1]
	v_add_f64 v[2:3], v[36:37], v[26:27]
	s_mov_b32 s0, 0xe8584caa
	v_add_f64 v[0:1], v[76:77], v[36:37]
	v_fmac_f64_e32 v[76:77], -0.5, v[2:3]
	v_add_f64 v[2:3], v[24:25], -v[38:39]
	s_mov_b32 s1, 0xbfebb67a
	s_mov_b32 s7, 0x3febb67a
	;; [unrolled: 1-line block ×3, first 2 shown]
	v_add_f64 v[6:7], v[24:25], v[38:39]
	v_fma_f64 v[4:5], s[0:1], v[2:3], v[76:77]
	v_fmac_f64_e32 v[76:77], s[6:7], v[2:3]
	v_add_f64 v[2:3], v[78:79], v[24:25]
	v_fmac_f64_e32 v[78:79], -0.5, v[6:7]
	v_add_f64 v[8:9], v[36:37], -v[26:27]
	v_add_f64 v[10:11], v[40:41], v[44:45]
	v_fma_f64 v[6:7], s[6:7], v[8:9], v[78:79]
	v_fmac_f64_e32 v[78:79], s[0:1], v[8:9]
	v_add_f64 v[8:9], v[164:165], v[40:41]
	v_fmac_f64_e32 v[164:165], -0.5, v[10:11]
	v_add_f64 v[10:11], v[42:43], -v[46:47]
	;; [unrolled: 6-line block ×4, first 2 shown]
	v_add_f64 v[22:23], v[50:51], v[54:55]
	v_add_f64 v[0:1], v[0:1], v[26:27]
	v_fma_f64 v[20:21], s[0:1], v[18:19], v[168:169]
	v_fmac_f64_e32 v[168:169], s[6:7], v[18:19]
	v_add_f64 v[18:19], v[170:171], v[50:51]
	v_fmac_f64_e32 v[170:171], -0.5, v[22:23]
	v_add_f64 v[24:25], v[48:49], -v[52:53]
	v_add_f64 v[26:27], v[56:57], v[58:59]
	v_fma_f64 v[22:23], s[6:7], v[24:25], v[170:171]
	v_fmac_f64_e32 v[170:171], s[0:1], v[24:25]
	v_add_f64 v[24:25], v[160:161], v[56:57]
	v_fmac_f64_e32 v[160:161], -0.5, v[26:27]
	v_add_f64 v[26:27], v[30:31], -v[62:63]
	v_fma_f64 v[28:29], s[0:1], v[26:27], v[160:161]
	v_fmac_f64_e32 v[160:161], s[6:7], v[26:27]
	v_add_f64 v[26:27], v[162:163], v[30:31]
	v_add_f64 v[30:31], v[30:31], v[62:63]
	;; [unrolled: 1-line block ×3, first 2 shown]
	v_fmac_f64_e32 v[162:163], -0.5, v[30:31]
	v_add_f64 v[32:33], v[56:57], -v[58:59]
	v_add_f64 v[34:35], v[64:65], v[92:93]
	v_add_f64 v[8:9], v[8:9], v[44:45]
	;; [unrolled: 1-line block ×3, first 2 shown]
	v_fma_f64 v[30:31], s[6:7], v[32:33], v[162:163]
	v_fmac_f64_e32 v[162:163], s[0:1], v[32:33]
	v_add_f64 v[32:33], v[172:173], v[64:65]
	v_fmac_f64_e32 v[172:173], -0.5, v[34:35]
	v_add_f64 v[34:35], v[66:67], -v[86:87]
	v_add_f64 v[36:37], v[66:67], v[86:87]
	s_barrier
	ds_write_b128 v253, v[0:3]
	ds_write_b128 v253, v[4:7] offset:272
	ds_write_b128 v253, v[76:79] offset:544
	v_accvgpr_read_b32 v0, a1
	v_add_f64 v[16:17], v[16:17], v[52:53]
	v_add_f64 v[18:19], v[18:19], v[54:55]
	v_fma_f64 v[84:85], s[0:1], v[34:35], v[172:173]
	v_fmac_f64_e32 v[172:173], s[6:7], v[34:35]
	v_add_f64 v[34:35], v[174:175], v[66:67]
	v_fmac_f64_e32 v[174:175], -0.5, v[36:37]
	v_add_f64 v[36:37], v[64:65], -v[92:93]
	ds_write_b128 v0, v[8:11]
	ds_write_b128 v0, v[12:15] offset:272
	ds_write_b128 v0, v[164:167] offset:544
	v_accvgpr_read_b32 v0, a3
	v_add_f64 v[24:25], v[24:25], v[58:59]
	v_add_f64 v[26:27], v[26:27], v[62:63]
	;; [unrolled: 1-line block ×3, first 2 shown]
	v_fma_f64 v[86:87], s[6:7], v[36:37], v[174:175]
	v_fmac_f64_e32 v[174:175], s[0:1], v[36:37]
	ds_write_b128 v0, v[16:19]
	ds_write_b128 v0, v[20:23] offset:272
	ds_write_b128 v0, v[168:171] offset:544
	v_accvgpr_read_b32 v0, a44
	v_accvgpr_read_b32 v36, a58
	v_add_f64 v[32:33], v[32:33], v[92:93]
	ds_write_b128 v0, v[24:27]
	ds_write_b128 v0, v[28:31] offset:272
	ds_write_b128 v0, v[160:163] offset:544
	v_accvgpr_read_b32 v0, a45
	v_accvgpr_read_b32 v38, a60
	;; [unrolled: 1-line block ×3, first 2 shown]
	ds_write_b128 v0, v[32:35]
	ds_write_b128 v0, v[84:87] offset:272
	ds_write_b128 v0, v[172:175] offset:544
	s_waitcnt lgkmcnt(0)
	s_barrier
	ds_read_b128 v[4:7], v60
	ds_read_b128 v[8:11], v60 offset:1904
	ds_read_b128 v[0:3], v60 offset:11424
	ds_read_b128 v[16:19], v60 offset:13328
	ds_read_b128 v[20:23], v60 offset:22848
	ds_read_b128 v[24:27], v60 offset:24752
	ds_read_b128 v[28:31], v60 offset:5712
	ds_read_b128 v[12:15], v60 offset:3808
	ds_read_b128 v[32:35], v60 offset:7616
	ds_read_b128 v[76:79], v60 offset:9520
	ds_read_b128 v[84:87], v60 offset:17136
	ds_read_b128 v[92:95], v60 offset:15232
	ds_read_b128 v[100:103], v60 offset:19040
	ds_read_b128 v[104:107], v60 offset:20944
	ds_read_b128 v[128:131], v60 offset:26656
	v_accvgpr_read_b32 v37, a59
	s_waitcnt lgkmcnt(8)
	v_mul_f64 v[48:49], v[38:39], v[30:31]
	v_fmac_f64_e32 v[48:49], v[36:37], v[28:29]
	v_mul_f64 v[28:29], v[38:39], v[28:29]
	v_fma_f64 v[50:51], v[36:37], v[30:31], -v[28:29]
	v_accvgpr_read_b32 v36, a54
	v_accvgpr_read_b32 v38, a56
	;; [unrolled: 1-line block ×4, first 2 shown]
	v_mul_f64 v[30:31], v[38:39], v[2:3]
	v_fmac_f64_e32 v[30:31], v[36:37], v[0:1]
	v_mul_f64 v[0:1], v[38:39], v[0:1]
	v_fma_f64 v[0:1], v[36:37], v[2:3], -v[0:1]
	v_accvgpr_read_b32 v36, a50
	v_accvgpr_read_b32 v38, a52
	v_accvgpr_read_b32 v39, a53
	v_accvgpr_read_b32 v37, a51
	s_waitcnt lgkmcnt(4)
	v_mul_f64 v[2:3], v[38:39], v[86:87]
	v_mul_f64 v[28:29], v[38:39], v[84:85]
	v_fmac_f64_e32 v[2:3], v[36:37], v[84:85]
	v_fma_f64 v[52:53], v[36:37], v[86:87], -v[28:29]
	v_accvgpr_read_b32 v36, a46
	v_accvgpr_read_b32 v38, a48
	;; [unrolled: 1-line block ×4, first 2 shown]
	v_mul_f64 v[54:55], v[38:39], v[22:23]
	v_fmac_f64_e32 v[54:55], v[36:37], v[20:21]
	v_mul_f64 v[20:21], v[38:39], v[20:21]
	v_fma_f64 v[56:57], v[36:37], v[22:23], -v[20:21]
	v_mul_f64 v[20:21], v[70:71], v[32:33]
	v_fma_f64 v[62:63], v[68:69], v[34:35], -v[20:21]
	v_accvgpr_read_b32 v20, a70
	v_accvgpr_read_b32 v22, a72
	;; [unrolled: 1-line block ×4, first 2 shown]
	v_mul_f64 v[66:67], v[22:23], v[18:19]
	v_mul_f64 v[58:59], v[70:71], v[34:35]
	v_fmac_f64_e32 v[66:67], v[20:21], v[16:17]
	v_mul_f64 v[16:17], v[22:23], v[16:17]
	v_fmac_f64_e32 v[58:59], v[68:69], v[32:33]
	v_fma_f64 v[68:69], v[20:21], v[18:19], -v[16:17]
	v_accvgpr_read_b32 v18, a66
	v_accvgpr_read_b32 v20, a68
	;; [unrolled: 1-line block ×4, first 2 shown]
	s_waitcnt lgkmcnt(2)
	v_mul_f64 v[70:71], v[20:21], v[102:103]
	v_mul_f64 v[16:17], v[20:21], v[100:101]
	v_fmac_f64_e32 v[70:71], v[18:19], v[100:101]
	v_fma_f64 v[84:85], v[18:19], v[102:103], -v[16:17]
	v_accvgpr_read_b32 v18, a62
	v_accvgpr_read_b32 v20, a64
	v_accvgpr_read_b32 v21, a65
	v_accvgpr_read_b32 v19, a63
	v_mul_f64 v[16:17], v[20:21], v[24:25]
	v_fma_f64 v[100:101], v[18:19], v[26:27], -v[16:17]
	v_mul_f64 v[16:17], v[98:99], v[76:77]
	v_fma_f64 v[32:33], v[96:97], v[78:79], -v[16:17]
	;; [unrolled: 2-line block ×3, first 2 shown]
	s_waitcnt lgkmcnt(1)
	v_mul_f64 v[16:17], v[82:83], v[104:105]
	v_fma_f64 v[36:37], v[80:81], v[106:107], -v[16:17]
	s_waitcnt lgkmcnt(0)
	v_mul_f64 v[16:17], v[74:75], v[128:129]
	v_fma_f64 v[38:39], v[72:73], v[130:131], -v[16:17]
	v_add_f64 v[16:17], v[4:5], v[48:49]
	v_add_f64 v[16:17], v[16:17], v[30:31]
	;; [unrolled: 1-line block ×3, first 2 shown]
	v_mul_f64 v[86:87], v[20:21], v[26:27]
	v_add_f64 v[20:21], v[16:17], v[54:55]
	v_add_f64 v[16:17], v[30:31], v[2:3]
	s_mov_b32 s6, 0x134454ff
	v_fmac_f64_e32 v[86:87], v[18:19], v[24:25]
	v_fma_f64 v[16:17], -0.5, v[16:17], v[4:5]
	v_add_f64 v[18:19], v[50:51], -v[56:57]
	s_mov_b32 s7, 0xbfee6f0e
	s_mov_b32 s0, 0x4755a5e
	;; [unrolled: 1-line block ×4, first 2 shown]
	v_fma_f64 v[24:25], s[6:7], v[18:19], v[16:17]
	v_add_f64 v[22:23], v[0:1], -v[52:53]
	s_mov_b32 s1, 0xbfe2cf23
	v_add_f64 v[26:27], v[48:49], -v[30:31]
	v_add_f64 v[28:29], v[54:55], -v[2:3]
	s_mov_b32 s16, 0x372fe950
	v_fmac_f64_e32 v[16:17], s[18:19], v[18:19]
	s_mov_b32 s21, 0x3fe2cf23
	s_mov_b32 s20, s0
	v_fmac_f64_e32 v[24:25], s[0:1], v[22:23]
	v_add_f64 v[26:27], v[26:27], v[28:29]
	s_mov_b32 s17, 0x3fd3c6ef
	v_fmac_f64_e32 v[16:17], s[20:21], v[22:23]
	v_fmac_f64_e32 v[24:25], s[16:17], v[26:27]
	;; [unrolled: 1-line block ×3, first 2 shown]
	v_add_f64 v[26:27], v[48:49], v[54:55]
	v_fmac_f64_e32 v[4:5], -0.5, v[26:27]
	v_fma_f64 v[28:29], s[18:19], v[22:23], v[4:5]
	v_fmac_f64_e32 v[4:5], s[6:7], v[22:23]
	v_fmac_f64_e32 v[28:29], s[0:1], v[18:19]
	;; [unrolled: 1-line block ×3, first 2 shown]
	v_add_f64 v[18:19], v[6:7], v[50:51]
	v_add_f64 v[18:19], v[18:19], v[0:1]
	;; [unrolled: 1-line block ×3, first 2 shown]
	v_add_f64 v[26:27], v[30:31], -v[48:49]
	v_add_f64 v[64:65], v[2:3], -v[54:55]
	v_add_f64 v[22:23], v[18:19], v[56:57]
	v_add_f64 v[18:19], v[0:1], v[52:53]
	;; [unrolled: 1-line block ×3, first 2 shown]
	v_fma_f64 v[18:19], -0.5, v[18:19], v[6:7]
	v_add_f64 v[48:49], v[48:49], -v[54:55]
	v_fmac_f64_e32 v[28:29], s[16:17], v[26:27]
	v_fmac_f64_e32 v[4:5], s[16:17], v[26:27]
	v_fma_f64 v[26:27], s[18:19], v[48:49], v[18:19]
	v_add_f64 v[2:3], v[30:31], -v[2:3]
	v_add_f64 v[30:31], v[50:51], -v[0:1]
	;; [unrolled: 1-line block ×3, first 2 shown]
	v_fmac_f64_e32 v[18:19], s[6:7], v[48:49]
	v_fmac_f64_e32 v[26:27], s[20:21], v[2:3]
	v_add_f64 v[30:31], v[30:31], v[54:55]
	v_fmac_f64_e32 v[18:19], s[0:1], v[2:3]
	v_fmac_f64_e32 v[26:27], s[16:17], v[30:31]
	;; [unrolled: 1-line block ×3, first 2 shown]
	v_add_f64 v[30:31], v[50:51], v[56:57]
	v_fmac_f64_e32 v[6:7], -0.5, v[30:31]
	v_fma_f64 v[30:31], s[6:7], v[2:3], v[6:7]
	v_add_f64 v[0:1], v[0:1], -v[50:51]
	v_add_f64 v[50:51], v[52:53], -v[56:57]
	v_fmac_f64_e32 v[6:7], s[18:19], v[2:3]
	v_fmac_f64_e32 v[30:31], s[20:21], v[48:49]
	v_add_f64 v[0:1], v[0:1], v[50:51]
	v_fmac_f64_e32 v[6:7], s[0:1], v[48:49]
	v_fmac_f64_e32 v[30:31], s[16:17], v[0:1]
	;; [unrolled: 1-line block ×3, first 2 shown]
	v_add_f64 v[0:1], v[8:9], v[58:59]
	v_add_f64 v[0:1], v[0:1], v[66:67]
	;; [unrolled: 1-line block ×5, first 2 shown]
	v_fma_f64 v[52:53], -0.5, v[0:1], v[8:9]
	v_add_f64 v[0:1], v[62:63], -v[100:101]
	v_fma_f64 v[56:57], s[6:7], v[0:1], v[52:53]
	v_add_f64 v[2:3], v[68:69], -v[84:85]
	v_add_f64 v[50:51], v[58:59], -v[66:67]
	;; [unrolled: 1-line block ×3, first 2 shown]
	v_fmac_f64_e32 v[52:53], s[18:19], v[0:1]
	v_fmac_f64_e32 v[56:57], s[0:1], v[2:3]
	v_add_f64 v[50:51], v[50:51], v[54:55]
	v_fmac_f64_e32 v[52:53], s[20:21], v[2:3]
	v_fmac_f64_e32 v[56:57], s[16:17], v[50:51]
	;; [unrolled: 1-line block ×3, first 2 shown]
	v_add_f64 v[50:51], v[58:59], v[86:87]
	v_fmac_f64_e32 v[8:9], -0.5, v[50:51]
	v_fma_f64 v[64:65], s[18:19], v[2:3], v[8:9]
	v_fmac_f64_e32 v[8:9], s[6:7], v[2:3]
	v_fmac_f64_e32 v[64:65], s[0:1], v[0:1]
	;; [unrolled: 1-line block ×3, first 2 shown]
	v_add_f64 v[0:1], v[10:11], v[62:63]
	v_add_f64 v[50:51], v[66:67], -v[58:59]
	v_add_f64 v[54:55], v[70:71], -v[86:87]
	v_add_f64 v[0:1], v[0:1], v[68:69]
	v_add_f64 v[50:51], v[50:51], v[54:55]
	v_add_f64 v[0:1], v[0:1], v[84:85]
	v_fmac_f64_e32 v[64:65], s[16:17], v[50:51]
	v_fmac_f64_e32 v[8:9], s[16:17], v[50:51]
	v_add_f64 v[50:51], v[0:1], v[100:101]
	v_add_f64 v[0:1], v[68:69], v[84:85]
	v_fma_f64 v[54:55], -0.5, v[0:1], v[10:11]
	v_add_f64 v[0:1], v[58:59], -v[86:87]
	v_fma_f64 v[58:59], s[18:19], v[0:1], v[54:55]
	v_add_f64 v[2:3], v[66:67], -v[70:71]
	v_add_f64 v[66:67], v[62:63], -v[68:69]
	;; [unrolled: 1-line block ×3, first 2 shown]
	v_fmac_f64_e32 v[54:55], s[6:7], v[0:1]
	v_fmac_f64_e32 v[58:59], s[20:21], v[2:3]
	v_add_f64 v[66:67], v[66:67], v[70:71]
	v_fmac_f64_e32 v[54:55], s[0:1], v[2:3]
	v_fmac_f64_e32 v[58:59], s[16:17], v[66:67]
	;; [unrolled: 1-line block ×3, first 2 shown]
	v_add_f64 v[66:67], v[62:63], v[100:101]
	v_mul_f64 v[40:41], v[98:99], v[78:79]
	v_fmac_f64_e32 v[10:11], -0.5, v[66:67]
	v_fmac_f64_e32 v[40:41], v[96:97], v[76:77]
	v_mul_f64 v[42:43], v[90:91], v[94:95]
	v_fma_f64 v[66:67], s[6:7], v[2:3], v[10:11]
	v_fmac_f64_e32 v[10:11], s[18:19], v[2:3]
	v_fmac_f64_e32 v[42:43], v[88:89], v[92:93]
	v_mul_f64 v[44:45], v[82:83], v[106:107]
	v_fmac_f64_e32 v[66:67], s[20:21], v[0:1]
	v_fmac_f64_e32 v[10:11], s[0:1], v[0:1]
	v_add_f64 v[0:1], v[12:13], v[40:41]
	v_fmac_f64_e32 v[44:45], v[80:81], v[104:105]
	v_mul_f64 v[46:47], v[74:75], v[130:131]
	v_add_f64 v[0:1], v[0:1], v[42:43]
	v_fmac_f64_e32 v[46:47], v[72:73], v[128:129]
	v_add_f64 v[62:63], v[68:69], -v[62:63]
	v_add_f64 v[68:69], v[84:85], -v[100:101]
	v_add_f64 v[0:1], v[0:1], v[44:45]
	v_add_f64 v[62:63], v[62:63], v[68:69]
	;; [unrolled: 1-line block ×4, first 2 shown]
	v_fma_f64 v[0:1], -0.5, v[0:1], v[12:13]
	v_add_f64 v[2:3], v[32:33], -v[38:39]
	v_fmac_f64_e32 v[66:67], s[16:17], v[62:63]
	v_fmac_f64_e32 v[10:11], s[16:17], v[62:63]
	v_fma_f64 v[72:73], s[6:7], v[2:3], v[0:1]
	v_add_f64 v[62:63], v[34:35], -v[36:37]
	v_add_f64 v[70:71], v[40:41], -v[42:43]
	v_add_f64 v[74:75], v[46:47], -v[44:45]
	v_fmac_f64_e32 v[0:1], s[18:19], v[2:3]
	v_fmac_f64_e32 v[72:73], s[0:1], v[62:63]
	v_add_f64 v[70:71], v[70:71], v[74:75]
	v_fmac_f64_e32 v[0:1], s[20:21], v[62:63]
	v_fmac_f64_e32 v[72:73], s[16:17], v[70:71]
	;; [unrolled: 1-line block ×3, first 2 shown]
	v_add_f64 v[70:71], v[40:41], v[46:47]
	v_fmac_f64_e32 v[12:13], -0.5, v[70:71]
	v_fma_f64 v[76:77], s[18:19], v[62:63], v[12:13]
	v_fmac_f64_e32 v[12:13], s[6:7], v[62:63]
	v_fmac_f64_e32 v[76:77], s[0:1], v[2:3]
	;; [unrolled: 1-line block ×3, first 2 shown]
	v_add_f64 v[2:3], v[14:15], v[32:33]
	v_add_f64 v[70:71], v[42:43], -v[40:41]
	v_add_f64 v[74:75], v[44:45], -v[46:47]
	v_add_f64 v[2:3], v[2:3], v[34:35]
	v_add_f64 v[70:71], v[70:71], v[74:75]
	;; [unrolled: 1-line block ×3, first 2 shown]
	v_fmac_f64_e32 v[76:77], s[16:17], v[70:71]
	v_fmac_f64_e32 v[12:13], s[16:17], v[70:71]
	v_add_f64 v[70:71], v[2:3], v[38:39]
	v_add_f64 v[2:3], v[34:35], v[36:37]
	v_fma_f64 v[2:3], -0.5, v[2:3], v[14:15]
	v_add_f64 v[40:41], v[40:41], -v[46:47]
	v_fma_f64 v[74:75], s[18:19], v[40:41], v[2:3]
	v_add_f64 v[42:43], v[42:43], -v[44:45]
	v_add_f64 v[44:45], v[32:33], -v[34:35]
	;; [unrolled: 1-line block ×3, first 2 shown]
	v_fmac_f64_e32 v[2:3], s[6:7], v[40:41]
	v_fmac_f64_e32 v[74:75], s[20:21], v[42:43]
	v_add_f64 v[44:45], v[44:45], v[46:47]
	v_fmac_f64_e32 v[2:3], s[0:1], v[42:43]
	v_fmac_f64_e32 v[74:75], s[16:17], v[44:45]
	;; [unrolled: 1-line block ×3, first 2 shown]
	v_add_f64 v[44:45], v[32:33], v[38:39]
	v_fmac_f64_e32 v[14:15], -0.5, v[44:45]
	v_fma_f64 v[78:79], s[6:7], v[42:43], v[14:15]
	v_add_f64 v[32:33], v[34:35], -v[32:33]
	v_add_f64 v[34:35], v[36:37], -v[38:39]
	v_fmac_f64_e32 v[14:15], s[18:19], v[42:43]
	v_fmac_f64_e32 v[78:79], s[20:21], v[40:41]
	v_add_f64 v[32:33], v[32:33], v[34:35]
	v_fmac_f64_e32 v[14:15], s[0:1], v[40:41]
	v_fmac_f64_e32 v[78:79], s[16:17], v[32:33]
	;; [unrolled: 1-line block ×3, first 2 shown]
	v_accvgpr_read_b32 v32, a94
	s_barrier
	ds_write_b128 v32, v[20:23]
	ds_write_b128 v32, v[24:27] offset:816
	ds_write_b128 v32, v[28:31] offset:1632
	;; [unrolled: 1-line block ×4, first 2 shown]
	v_accvgpr_read_b32 v4, a95
	ds_write_b128 v4, v[48:51]
	ds_write_b128 v4, v[56:59] offset:816
	ds_write_b128 v4, v[64:67] offset:1632
	;; [unrolled: 1-line block ×4, first 2 shown]
	ds_write_b128 v61, v[68:71]
	ds_write_b128 v61, v[72:75] offset:816
	ds_write_b128 v61, v[76:79] offset:1632
	;; [unrolled: 1-line block ×4, first 2 shown]
	s_waitcnt lgkmcnt(0)
	s_barrier
	ds_read_b128 v[8:11], v60
	ds_read_b128 v[4:7], v60 offset:1904
	ds_read_b128 v[56:59], v60 offset:4080
	;; [unrolled: 1-line block ×13, first 2 shown]
	s_and_saveexec_b64 s[0:1], s[2:3]
	s_cbranch_execz .LBB0_19
; %bb.18:
	ds_read_b128 v[0:3], v60 offset:3808
	ds_read_b128 v[236:239], v60 offset:7888
	;; [unrolled: 1-line block ×7, first 2 shown]
.LBB0_19:
	s_or_b64 exec, exec, s[0:1]
	s_waitcnt lgkmcnt(11)
	v_mul_f64 v[62:63], v[126:127], v[58:59]
	v_fmac_f64_e32 v[62:63], v[124:125], v[56:57]
	v_mul_f64 v[56:57], v[126:127], v[56:57]
	v_fma_f64 v[56:57], v[124:125], v[58:59], -v[56:57]
	s_waitcnt lgkmcnt(9)
	v_mul_f64 v[58:59], v[118:119], v[54:55]
	v_fmac_f64_e32 v[58:59], v[116:117], v[52:53]
	v_mul_f64 v[52:53], v[118:119], v[52:53]
	v_fma_f64 v[52:53], v[116:117], v[54:55], -v[52:53]
	;; [unrolled: 5-line block ×5, first 2 shown]
	s_waitcnt lgkmcnt(1)
	v_mul_f64 v[42:43], v[122:123], v[38:39]
	v_mul_f64 v[74:75], v[138:139], v[22:23]
	s_waitcnt lgkmcnt(0)
	v_mul_f64 v[82:83], v[150:151], v[14:15]
	v_fmac_f64_e32 v[42:43], v[120:121], v[36:37]
	v_mul_f64 v[36:37], v[122:123], v[36:37]
	v_mul_f64 v[66:67], v[146:147], v[30:31]
	v_fmac_f64_e32 v[74:75], v[136:137], v[20:21]
	v_mul_f64 v[20:21], v[138:139], v[20:21]
	;; [unrolled: 3-line block ×3, first 2 shown]
	v_fma_f64 v[36:37], v[120:121], v[38:39], -v[36:37]
	v_fmac_f64_e32 v[66:67], v[144:145], v[28:29]
	v_mul_f64 v[28:29], v[146:147], v[28:29]
	v_mul_f64 v[70:71], v[142:143], v[26:27]
	v_fma_f64 v[76:77], v[136:137], v[22:23], -v[20:21]
	v_fmac_f64_e32 v[78:79], v[156:157], v[16:17]
	v_mul_f64 v[16:17], v[158:159], v[16:17]
	v_fma_f64 v[84:85], v[148:149], v[14:15], -v[12:13]
	v_add_f64 v[12:13], v[62:63], v[42:43]
	v_add_f64 v[20:21], v[58:59], v[46:47]
	v_mul_f64 v[38:39], v[154:155], v[34:35]
	v_fma_f64 v[68:69], v[144:145], v[30:31], -v[28:29]
	v_fmac_f64_e32 v[70:71], v[140:141], v[24:25]
	v_mul_f64 v[24:25], v[142:143], v[24:25]
	v_fma_f64 v[80:81], v[156:157], v[18:19], -v[16:17]
	v_add_f64 v[14:15], v[56:57], v[36:37]
	v_add_f64 v[18:19], v[56:57], -v[36:37]
	v_add_f64 v[22:23], v[52:53], v[40:41]
	v_add_f64 v[28:29], v[54:55], v[50:51]
	;; [unrolled: 1-line block ×3, first 2 shown]
	v_fmac_f64_e32 v[38:39], v[152:153], v[32:33]
	v_mul_f64 v[32:33], v[154:155], v[32:33]
	v_fma_f64 v[72:73], v[140:141], v[26:27], -v[24:25]
	v_add_f64 v[16:17], v[62:63], -v[42:43]
	v_add_f64 v[26:27], v[52:53], -v[40:41]
	v_add_f64 v[30:31], v[48:49], v[44:45]
	v_add_f64 v[40:41], v[22:23], v[14:15]
	v_add_f64 v[42:43], v[20:21], -v[12:13]
	v_add_f64 v[12:13], v[12:13], -v[28:29]
	;; [unrolled: 1-line block ×3, first 2 shown]
	v_add_f64 v[28:29], v[28:29], v[36:37]
	v_fma_f64 v[64:65], v[152:153], v[34:35], -v[32:33]
	v_add_f64 v[24:25], v[58:59], -v[46:47]
	v_add_f64 v[32:33], v[50:51], -v[54:55]
	;; [unrolled: 1-line block ×6, first 2 shown]
	v_add_f64 v[30:31], v[30:31], v[40:41]
	v_add_f64 v[8:9], v[8:9], v[28:29]
	s_mov_b32 s16, 0x37e14327
	s_mov_b32 s18, 0x36b3c0b5
	;; [unrolled: 1-line block ×5, first 2 shown]
	v_add_f64 v[46:47], v[32:33], v[24:25]
	v_add_f64 v[48:49], v[34:35], v[26:27]
	v_add_f64 v[50:51], v[32:33], -v[24:25]
	v_add_f64 v[52:53], v[34:35], -v[26:27]
	;; [unrolled: 1-line block ×4, first 2 shown]
	v_add_f64 v[10:11], v[10:11], v[30:31]
	s_mov_b32 s17, 0x3fe948f6
	s_mov_b32 s19, 0x3fac98ee
	;; [unrolled: 1-line block ×5, first 2 shown]
	v_mov_b64_e32 v[54:55], v[8:9]
	s_mov_b32 s6, 0x5476071b
	s_mov_b32 s30, 0xb247c609
	v_add_f64 v[32:33], v[16:17], -v[32:33]
	v_add_f64 v[34:35], v[18:19], -v[34:35]
	v_add_f64 v[16:17], v[46:47], v[16:17]
	v_add_f64 v[18:19], v[48:49], v[18:19]
	v_mul_f64 v[12:13], v[12:13], s[16:17]
	v_mul_f64 v[14:15], v[14:15], s[16:17]
	;; [unrolled: 1-line block ×8, first 2 shown]
	v_fmac_f64_e32 v[54:55], s[28:29], v[28:29]
	v_mov_b64_e32 v[28:29], v[10:11]
	s_mov_b32 s7, 0x3fe77f67
	s_mov_b32 s23, 0xbfe77f67
	;; [unrolled: 1-line block ×7, first 2 shown]
	v_fmac_f64_e32 v[28:29], s[28:29], v[30:31]
	v_fma_f64 v[30:31], v[42:43], s[6:7], -v[36:37]
	v_fma_f64 v[36:37], v[44:45], s[6:7], -v[40:41]
	;; [unrolled: 1-line block ×3, first 2 shown]
	v_fmac_f64_e32 v[12:13], s[18:19], v[20:21]
	v_fma_f64 v[20:21], v[44:45], s[22:23], -v[14:15]
	v_fma_f64 v[42:43], v[24:25], s[0:1], -v[46:47]
	v_fmac_f64_e32 v[46:47], s[30:31], v[32:33]
	v_fma_f64 v[24:25], v[26:27], s[0:1], -v[48:49]
	v_fmac_f64_e32 v[48:49], s[30:31], v[34:35]
	v_fma_f64 v[32:33], v[32:33], s[26:27], -v[50:51]
	v_fma_f64 v[34:35], v[34:35], s[26:27], -v[52:53]
	s_mov_b32 s25, 0xbfdc38aa
	v_fmac_f64_e32 v[14:15], s[18:19], v[22:23]
	v_add_f64 v[44:45], v[12:13], v[54:55]
	v_add_f64 v[26:27], v[30:31], v[54:55]
	;; [unrolled: 1-line block ×5, first 2 shown]
	v_fmac_f64_e32 v[48:49], s[24:25], v[18:19]
	v_fmac_f64_e32 v[42:43], s[24:25], v[16:17]
	;; [unrolled: 1-line block ×5, first 2 shown]
	v_add_f64 v[50:51], v[14:15], v[28:29]
	v_fmac_f64_e32 v[46:47], s[24:25], v[16:17]
	v_add_f64 v[12:13], v[48:49], v[44:45]
	v_add_f64 v[16:17], v[34:35], v[36:37]
	v_add_f64 v[18:19], v[40:41], -v[32:33]
	v_add_f64 v[20:21], v[26:27], -v[24:25]
	v_add_f64 v[22:23], v[42:43], v[30:31]
	v_add_f64 v[24:25], v[24:25], v[26:27]
	v_add_f64 v[26:27], v[30:31], -v[42:43]
	v_add_f64 v[28:29], v[36:37], -v[34:35]
	v_add_f64 v[30:31], v[32:33], v[40:41]
	v_add_f64 v[32:33], v[44:45], -v[48:49]
	v_add_f64 v[36:37], v[38:39], v[82:83]
	v_add_f64 v[44:45], v[66:67], v[78:79]
	v_add_f64 v[14:15], v[50:51], -v[46:47]
	v_add_f64 v[34:35], v[46:47], v[50:51]
	v_add_f64 v[40:41], v[64:65], v[84:85]
	v_add_f64 v[46:47], v[68:69], v[80:81]
	v_add_f64 v[52:53], v[70:71], v[74:75]
	v_add_f64 v[62:63], v[44:45], v[36:37]
	v_add_f64 v[42:43], v[64:65], -v[84:85]
	v_add_f64 v[48:49], v[66:67], -v[78:79]
	v_add_f64 v[54:55], v[72:73], v[76:77]
	v_add_f64 v[64:65], v[46:47], v[40:41]
	v_add_f64 v[66:67], v[44:45], -v[36:37]
	v_add_f64 v[36:37], v[36:37], -v[52:53]
	;; [unrolled: 1-line block ×3, first 2 shown]
	v_add_f64 v[52:53], v[52:53], v[62:63]
	v_add_f64 v[50:51], v[68:69], -v[80:81]
	v_add_f64 v[56:57], v[74:75], -v[70:71]
	;; [unrolled: 1-line block ×6, first 2 shown]
	v_add_f64 v[54:55], v[54:55], v[64:65]
	v_add_f64 v[4:5], v[4:5], v[52:53]
	v_add_f64 v[38:39], v[38:39], -v[82:83]
	v_add_f64 v[70:71], v[56:57], v[48:49]
	v_add_f64 v[72:73], v[58:59], v[50:51]
	v_add_f64 v[74:75], v[56:57], -v[48:49]
	v_add_f64 v[76:77], v[58:59], -v[50:51]
	;; [unrolled: 1-line block ×3, first 2 shown]
	v_add_f64 v[6:7], v[6:7], v[54:55]
	v_mov_b64_e32 v[78:79], v[4:5]
	v_add_f64 v[56:57], v[38:39], -v[56:57]
	v_add_f64 v[58:59], v[42:43], -v[58:59]
	;; [unrolled: 1-line block ×3, first 2 shown]
	v_add_f64 v[38:39], v[70:71], v[38:39]
	v_add_f64 v[42:43], v[72:73], v[42:43]
	v_mul_f64 v[36:37], v[36:37], s[16:17]
	v_mul_f64 v[40:41], v[40:41], s[16:17]
	;; [unrolled: 1-line block ×7, first 2 shown]
	v_fmac_f64_e32 v[78:79], s[28:29], v[52:53]
	v_mov_b64_e32 v[52:53], v[6:7]
	v_mul_f64 v[74:75], v[48:49], s[0:1]
	v_fmac_f64_e32 v[52:53], s[28:29], v[54:55]
	v_fma_f64 v[54:55], v[66:67], s[6:7], -v[62:63]
	v_fma_f64 v[62:63], v[68:69], s[6:7], -v[64:65]
	v_fma_f64 v[64:65], v[66:67], s[22:23], -v[36:37]
	v_fmac_f64_e32 v[36:37], s[18:19], v[44:45]
	v_fma_f64 v[44:45], v[68:69], s[22:23], -v[40:41]
	v_fmac_f64_e32 v[40:41], s[18:19], v[46:47]
	v_fma_f64 v[66:67], v[48:49], s[0:1], -v[70:71]
	;; [unrolled: 2-line block ×4, first 2 shown]
	v_fma_f64 v[56:57], v[56:57], s[26:27], -v[74:75]
	v_add_f64 v[74:75], v[40:41], v[52:53]
	v_add_f64 v[50:51], v[54:55], v[78:79]
	;; [unrolled: 1-line block ×4, first 2 shown]
	v_fmac_f64_e32 v[70:71], s[24:25], v[38:39]
	v_fmac_f64_e32 v[58:59], s[24:25], v[42:43]
	v_add_f64 v[68:69], v[36:37], v[78:79]
	v_add_f64 v[64:65], v[44:45], v[52:53]
	v_fmac_f64_e32 v[72:73], s[24:25], v[42:43]
	v_fmac_f64_e32 v[66:67], s[24:25], v[38:39]
	;; [unrolled: 1-line block ×4, first 2 shown]
	v_add_f64 v[40:41], v[58:59], v[62:63]
	v_add_f64 v[52:53], v[62:63], -v[58:59]
	v_add_f64 v[58:59], v[70:71], v[74:75]
	v_add_f64 v[36:37], v[72:73], v[68:69]
	v_add_f64 v[38:39], v[74:75], -v[70:71]
	v_add_f64 v[42:43], v[64:65], -v[56:57]
	v_add_f64 v[44:45], v[50:51], -v[48:49]
	v_add_f64 v[46:47], v[66:67], v[54:55]
	v_add_f64 v[48:49], v[48:49], v[50:51]
	v_add_f64 v[50:51], v[54:55], -v[66:67]
	v_add_f64 v[54:55], v[56:57], v[64:65]
	v_add_f64 v[56:57], v[68:69], -v[72:73]
	ds_write_b128 v60, v[8:11]
	ds_write_b128 v60, v[12:15] offset:4080
	ds_write_b128 v60, v[16:19] offset:8160
	;; [unrolled: 1-line block ×13, first 2 shown]
	s_mov_b64 s[34:35], exec
	s_and_b64 s[2:3], s[34:35], s[2:3]
	v_accvgpr_read_b32 v58, a0
	s_mov_b64 exec, s[2:3]
	s_cbranch_execz .LBB0_21
; %bb.20:
	v_accvgpr_read_b32 v32, a86
	v_accvgpr_read_b32 v42, a90
	;; [unrolled: 1-line block ×31, first 2 shown]
	v_mul_f64 v[4:5], v[34:35], v[238:239]
	v_accvgpr_read_b32 v43, a91
	v_accvgpr_read_b32 v75, a113
	v_mul_f64 v[8:9], v[44:45], v[76:77]
	v_accvgpr_read_b32 v47, a75
	v_accvgpr_read_b32 v67, a105
	;; [unrolled: 3-line block ×3, first 2 shown]
	v_mul_f64 v[14:15], v[52:53], v[64:65]
	v_accvgpr_read_b32 v39, a83
	v_mul_f64 v[18:19], v[40:41], v[234:235]
	v_accvgpr_read_b32 v55, a97
	v_accvgpr_read_b32 v71, a109
	v_mul_f64 v[20:21], v[56:57], v[72:73]
	v_fmac_f64_e32 v[4:5], v[32:33], v[236:237]
	v_fmac_f64_e32 v[8:9], v[42:43], v[74:75]
	v_fmac_f64_e32 v[12:13], v[46:47], v[66:67]
	v_fmac_f64_e32 v[14:15], v[50:51], v[62:63]
	v_fmac_f64_e32 v[18:19], v[38:39], v[232:233]
	v_fmac_f64_e32 v[20:21], v[54:55], v[70:71]
	v_add_f64 v[10:11], v[4:5], -v[8:9]
	v_add_f64 v[6:7], v[12:13], -v[14:15]
	;; [unrolled: 1-line block ×5, first 2 shown]
	v_add_f64 v[6:7], v[6:7], v[22:23]
	v_add_f64 v[28:29], v[6:7], v[10:11]
	v_mul_f64 v[6:7], v[44:45], v[74:75]
	v_fma_f64 v[30:31], v[42:43], v[76:77], -v[6:7]
	v_mul_f64 v[6:7], v[34:35], v[236:237]
	v_add_f64 v[8:9], v[4:5], v[8:9]
	v_add_f64 v[18:19], v[18:19], v[20:21]
	v_fma_f64 v[32:33], v[32:33], v[238:239], -v[6:7]
	v_mul_f64 v[6:7], v[56:57], v[70:71]
	v_add_f64 v[4:5], v[18:19], v[8:9]
	v_add_f64 v[12:13], v[14:15], v[12:13]
	v_fma_f64 v[36:37], v[54:55], v[72:73], -v[6:7]
	v_mul_f64 v[6:7], v[40:41], v[232:233]
	v_add_f64 v[4:5], v[12:13], v[4:5]
	v_fma_f64 v[38:39], v[38:39], v[234:235], -v[6:7]
	v_mul_f64 v[42:43], v[52:53], v[62:63]
	v_mul_f64 v[44:45], v[48:49], v[66:67]
	v_add_f64 v[0:1], v[0:1], v[4:5]
	v_add_f64 v[34:35], v[32:33], v[30:31]
	;; [unrolled: 1-line block ×3, first 2 shown]
	v_fma_f64 v[42:43], v[50:51], v[64:65], -v[42:43]
	v_fma_f64 v[44:45], v[46:47], v[68:69], -v[44:45]
	v_mov_b64_e32 v[20:21], v[0:1]
	v_add_f64 v[6:7], v[40:41], v[34:35]
	v_add_f64 v[46:47], v[42:43], v[44:45]
	v_fmac_f64_e32 v[20:21], s[28:29], v[4:5]
	v_add_f64 v[4:5], v[8:9], -v[12:13]
	v_add_f64 v[6:7], v[46:47], v[6:7]
	v_mul_f64 v[14:15], v[4:5], s[16:17]
	v_add_f64 v[4:5], v[12:13], -v[18:19]
	v_add_f64 v[2:3], v[2:3], v[6:7]
	v_mul_f64 v[12:13], v[4:5], s[18:19]
	v_fma_f64 v[4:5], s[18:19], v[4:5], v[14:15]
	v_mov_b64_e32 v[48:49], v[2:3]
	v_add_f64 v[54:55], v[4:5], v[20:21]
	v_add_f64 v[30:31], v[32:33], -v[30:31]
	v_add_f64 v[4:5], v[44:45], -v[42:43]
	;; [unrolled: 1-line block ×3, first 2 shown]
	v_fmac_f64_e32 v[48:49], s[28:29], v[6:7]
	v_add_f64 v[6:7], v[34:35], -v[46:47]
	v_add_f64 v[32:33], v[30:31], -v[4:5]
	;; [unrolled: 1-line block ×3, first 2 shown]
	v_add_f64 v[4:5], v[4:5], v[36:37]
	v_add_f64 v[22:23], v[22:23], -v[10:11]
	v_add_f64 v[18:19], v[18:19], -v[8:9]
	v_mul_f64 v[24:25], v[24:25], s[20:21]
	v_mul_f64 v[50:51], v[6:7], s[16:17]
	v_add_f64 v[6:7], v[46:47], -v[40:41]
	v_add_f64 v[44:45], v[4:5], v[30:31]
	v_mul_f64 v[10:11], v[22:23], s[0:1]
	v_fma_f64 v[8:9], v[18:19], s[22:23], -v[14:15]
	v_add_f64 v[30:31], v[36:37], -v[30:31]
	v_fma_f64 v[26:27], s[30:31], v[16:17], v[24:25]
	v_mul_f64 v[46:47], v[6:7], s[18:19]
	v_mul_f64 v[38:39], v[38:39], s[20:21]
	v_fma_f64 v[56:57], v[16:17], s[26:27], -v[10:11]
	v_add_f64 v[16:17], v[40:41], -v[34:35]
	v_add_f64 v[40:41], v[8:9], v[20:21]
	v_mul_f64 v[8:9], v[30:31], s[0:1]
	v_fma_f64 v[6:7], s[18:19], v[6:7], v[50:51]
	v_fma_f64 v[42:43], s[30:31], v[32:33], v[38:39]
	v_fma_f64 v[10:11], v[16:17], s[22:23], -v[50:51]
	v_fma_f64 v[32:33], v[32:33], s[26:27], -v[8:9]
	;; [unrolled: 1-line block ×6, first 2 shown]
	v_fmac_f64_e32 v[26:27], s[24:25], v[28:29]
	v_add_f64 v[52:53], v[6:7], v[48:49]
	v_fmac_f64_e32 v[42:43], s[24:25], v[44:45]
	v_fmac_f64_e32 v[56:57], s[24:25], v[28:29]
	v_add_f64 v[34:35], v[10:11], v[48:49]
	v_fmac_f64_e32 v[32:33], s[24:25], v[44:45]
	v_add_f64 v[16:17], v[14:15], v[48:49]
	;; [unrolled: 2-line block ×4, first 2 shown]
	v_add_f64 v[4:5], v[54:55], -v[42:43]
	v_add_f64 v[10:11], v[56:57], v[34:35]
	v_add_f64 v[8:9], v[40:41], -v[32:33]
	v_add_f64 v[14:15], v[16:17], -v[22:23]
	v_add_f64 v[12:13], v[24:25], v[20:21]
	v_add_f64 v[18:19], v[22:23], v[16:17]
	v_add_f64 v[16:17], v[20:21], -v[24:25]
	v_add_f64 v[22:23], v[34:35], -v[56:57]
	v_add_f64 v[20:21], v[32:33], v[40:41]
	v_add_f64 v[26:27], v[52:53], -v[26:27]
	v_add_f64 v[24:25], v[42:43], v[54:55]
	ds_write_b128 v60, v[0:3] offset:3808
	ds_write_b128 v60, v[24:27] offset:7888
	;; [unrolled: 1-line block ×7, first 2 shown]
.LBB0_21:
	s_or_b64 exec, exec, s[34:35]
	s_waitcnt lgkmcnt(0)
	s_barrier
	s_and_b64 exec, exec, s[4:5]
	s_cbranch_execz .LBB0_23
; %bb.22:
	global_load_dwordx4 v[0:3], v252, s[12:13]
	v_accvgpr_read_b32 v26, a2
	v_mad_u64_u32 v[14:15], s[0:1], s10, v26, 0
	ds_read_b128 v[4:7], v60
	ds_read_b128 v[8:11], v252 offset:1680
	ds_read_b128 v[18:21], v252 offset:26880
	v_mov_b32_e32 v22, v15
	v_mad_u64_u32 v[16:17], s[2:3], s8, v58, 0
	v_mad_u64_u32 v[22:23], s[2:3], s11, v26, v[22:23]
	v_mov_b32_e32 v12, s14
	v_mov_b32_e32 v13, s15
	;; [unrolled: 1-line block ×4, first 2 shown]
	s_mov_b32 s0, 0x125b8012
	v_mad_u64_u32 v[24:25], s[2:3], s9, v58, v[24:25]
	v_lshl_add_u64 v[12:13], v[14:15], 4, v[12:13]
	s_mov_b32 s1, 0x3f425b80
	v_mov_b32_e32 v17, v24
	v_lshl_add_u64 v[12:13], v[16:17], 4, v[12:13]
	v_mov_b32_e32 v24, 0x690
	s_mul_i32 s2, s9, 0x690
	v_mov_b32_e32 v253, 0
	s_movk_i32 s3, 0x1000
	s_waitcnt vmcnt(0) lgkmcnt(2)
	v_mul_f64 v[14:15], v[6:7], v[2:3]
	v_mul_f64 v[2:3], v[4:5], v[2:3]
	v_fmac_f64_e32 v[14:15], v[4:5], v[0:1]
	v_fma_f64 v[2:3], v[0:1], v[6:7], -v[2:3]
	v_mul_f64 v[0:1], v[14:15], s[0:1]
	v_mul_f64 v[2:3], v[2:3], s[0:1]
	global_store_dwordx4 v[12:13], v[0:3], off
	global_load_dwordx4 v[0:3], v252, s[12:13] offset:1680
	v_mad_u64_u32 v[12:13], s[4:5], s8, v24, v[12:13]
	v_add_u32_e32 v13, s2, v13
	v_lshl_add_u64 v[14:15], s[12:13], 0, v[252:253]
	v_add_co_u32_e32 v16, vcc, s3, v14
	s_movk_i32 s3, 0x2000
	s_nop 0
	v_addc_co_u32_e32 v17, vcc, 0, v15, vcc
	s_waitcnt vmcnt(0) lgkmcnt(1)
	v_mul_f64 v[4:5], v[10:11], v[2:3]
	v_mul_f64 v[2:3], v[8:9], v[2:3]
	v_fmac_f64_e32 v[4:5], v[8:9], v[0:1]
	v_fma_f64 v[2:3], v[0:1], v[10:11], -v[2:3]
	v_mul_f64 v[0:1], v[4:5], s[0:1]
	v_mul_f64 v[2:3], v[2:3], s[0:1]
	global_store_dwordx4 v[12:13], v[0:3], off
	global_load_dwordx4 v[0:3], v252, s[12:13] offset:3360
	ds_read_b128 v[4:7], v252 offset:3360
	ds_read_b128 v[8:11], v252 offset:5040
	v_mad_u64_u32 v[12:13], s[4:5], s8, v24, v[12:13]
	v_add_u32_e32 v13, s2, v13
	s_waitcnt vmcnt(0) lgkmcnt(1)
	v_mul_f64 v[22:23], v[6:7], v[2:3]
	v_mul_f64 v[2:3], v[4:5], v[2:3]
	v_fmac_f64_e32 v[22:23], v[4:5], v[0:1]
	v_fma_f64 v[2:3], v[0:1], v[6:7], -v[2:3]
	v_mul_f64 v[0:1], v[22:23], s[0:1]
	v_mul_f64 v[2:3], v[2:3], s[0:1]
	global_store_dwordx4 v[12:13], v[0:3], off
	global_load_dwordx4 v[0:3], v[16:17], off offset:944
	v_mad_u64_u32 v[12:13], s[4:5], s8, v24, v[12:13]
	v_add_u32_e32 v13, s2, v13
	s_waitcnt vmcnt(0) lgkmcnt(0)
	v_mul_f64 v[4:5], v[10:11], v[2:3]
	v_mul_f64 v[2:3], v[8:9], v[2:3]
	v_fmac_f64_e32 v[4:5], v[8:9], v[0:1]
	v_fma_f64 v[2:3], v[0:1], v[10:11], -v[2:3]
	v_mul_f64 v[0:1], v[4:5], s[0:1]
	v_mul_f64 v[2:3], v[2:3], s[0:1]
	global_store_dwordx4 v[12:13], v[0:3], off
	global_load_dwordx4 v[0:3], v[16:17], off offset:2624
	ds_read_b128 v[4:7], v252 offset:6720
	ds_read_b128 v[8:11], v252 offset:8400
	v_mad_u64_u32 v[12:13], s[4:5], s8, v24, v[12:13]
	v_add_co_u32_e32 v16, vcc, s3, v14
	v_add_u32_e32 v13, s2, v13
	s_nop 0
	v_addc_co_u32_e32 v17, vcc, 0, v15, vcc
	s_movk_i32 s3, 0x3000
	s_waitcnt vmcnt(0) lgkmcnt(1)
	v_mul_f64 v[22:23], v[6:7], v[2:3]
	v_mul_f64 v[2:3], v[4:5], v[2:3]
	v_fmac_f64_e32 v[22:23], v[4:5], v[0:1]
	v_fma_f64 v[2:3], v[0:1], v[6:7], -v[2:3]
	v_mul_f64 v[0:1], v[22:23], s[0:1]
	v_mul_f64 v[2:3], v[2:3], s[0:1]
	global_store_dwordx4 v[12:13], v[0:3], off
	global_load_dwordx4 v[0:3], v[16:17], off offset:208
	v_mad_u64_u32 v[12:13], s[4:5], s8, v24, v[12:13]
	v_add_u32_e32 v13, s2, v13
	s_waitcnt vmcnt(0) lgkmcnt(0)
	v_mul_f64 v[4:5], v[10:11], v[2:3]
	v_mul_f64 v[2:3], v[8:9], v[2:3]
	v_fmac_f64_e32 v[4:5], v[8:9], v[0:1]
	v_fma_f64 v[2:3], v[0:1], v[10:11], -v[2:3]
	v_mul_f64 v[0:1], v[4:5], s[0:1]
	v_mul_f64 v[2:3], v[2:3], s[0:1]
	global_store_dwordx4 v[12:13], v[0:3], off
	global_load_dwordx4 v[0:3], v[16:17], off offset:1888
	ds_read_b128 v[4:7], v252 offset:10080
	ds_read_b128 v[8:11], v252 offset:11760
	v_mad_u64_u32 v[12:13], s[4:5], s8, v24, v[12:13]
	v_add_u32_e32 v13, s2, v13
	s_waitcnt vmcnt(0) lgkmcnt(1)
	v_mul_f64 v[22:23], v[6:7], v[2:3]
	v_mul_f64 v[2:3], v[4:5], v[2:3]
	v_fmac_f64_e32 v[22:23], v[4:5], v[0:1]
	v_fma_f64 v[2:3], v[0:1], v[6:7], -v[2:3]
	v_mul_f64 v[0:1], v[22:23], s[0:1]
	v_mul_f64 v[2:3], v[2:3], s[0:1]
	global_store_dwordx4 v[12:13], v[0:3], off
	global_load_dwordx4 v[0:3], v[16:17], off offset:3568
	v_mad_u64_u32 v[12:13], s[4:5], s8, v24, v[12:13]
	v_add_co_u32_e32 v16, vcc, s3, v14
	v_add_u32_e32 v13, s2, v13
	s_nop 0
	v_addc_co_u32_e32 v17, vcc, 0, v15, vcc
	s_movk_i32 s3, 0x4000
	s_waitcnt vmcnt(0) lgkmcnt(0)
	v_mul_f64 v[4:5], v[10:11], v[2:3]
	v_mul_f64 v[2:3], v[8:9], v[2:3]
	v_fmac_f64_e32 v[4:5], v[8:9], v[0:1]
	v_fma_f64 v[2:3], v[0:1], v[10:11], -v[2:3]
	v_mul_f64 v[0:1], v[4:5], s[0:1]
	v_mul_f64 v[2:3], v[2:3], s[0:1]
	global_store_dwordx4 v[12:13], v[0:3], off
	global_load_dwordx4 v[0:3], v[16:17], off offset:1152
	ds_read_b128 v[4:7], v252 offset:13440
	ds_read_b128 v[8:11], v252 offset:15120
	v_mad_u64_u32 v[12:13], s[4:5], s8, v24, v[12:13]
	v_add_u32_e32 v13, s2, v13
	s_waitcnt vmcnt(0) lgkmcnt(1)
	v_mul_f64 v[22:23], v[6:7], v[2:3]
	v_mul_f64 v[2:3], v[4:5], v[2:3]
	v_fmac_f64_e32 v[22:23], v[4:5], v[0:1]
	v_fma_f64 v[2:3], v[0:1], v[6:7], -v[2:3]
	v_mul_f64 v[0:1], v[22:23], s[0:1]
	v_mul_f64 v[2:3], v[2:3], s[0:1]
	global_store_dwordx4 v[12:13], v[0:3], off
	global_load_dwordx4 v[0:3], v[16:17], off offset:2832
	v_mad_u64_u32 v[12:13], s[4:5], s8, v24, v[12:13]
	v_add_co_u32_e32 v16, vcc, s3, v14
	v_add_u32_e32 v13, s2, v13
	s_nop 0
	v_addc_co_u32_e32 v17, vcc, 0, v15, vcc
	s_movk_i32 s3, 0x5000
	s_waitcnt vmcnt(0) lgkmcnt(0)
	v_mul_f64 v[4:5], v[10:11], v[2:3]
	v_mul_f64 v[2:3], v[8:9], v[2:3]
	v_fmac_f64_e32 v[4:5], v[8:9], v[0:1]
	v_fma_f64 v[2:3], v[0:1], v[10:11], -v[2:3]
	v_mul_f64 v[0:1], v[4:5], s[0:1]
	v_mul_f64 v[2:3], v[2:3], s[0:1]
	global_store_dwordx4 v[12:13], v[0:3], off
	global_load_dwordx4 v[0:3], v[16:17], off offset:416
	ds_read_b128 v[4:7], v252 offset:16800
	ds_read_b128 v[8:11], v252 offset:18480
	v_mad_u64_u32 v[12:13], s[4:5], s8, v24, v[12:13]
	v_add_u32_e32 v13, s2, v13
	s_waitcnt vmcnt(0) lgkmcnt(1)
	v_mul_f64 v[22:23], v[6:7], v[2:3]
	v_mul_f64 v[2:3], v[4:5], v[2:3]
	v_fmac_f64_e32 v[22:23], v[4:5], v[0:1]
	v_fma_f64 v[2:3], v[0:1], v[6:7], -v[2:3]
	v_mul_f64 v[0:1], v[22:23], s[0:1]
	v_mul_f64 v[2:3], v[2:3], s[0:1]
	global_store_dwordx4 v[12:13], v[0:3], off
	global_load_dwordx4 v[0:3], v[16:17], off offset:2096
	v_mad_u64_u32 v[12:13], s[4:5], s8, v24, v[12:13]
	v_add_u32_e32 v13, s2, v13
	s_waitcnt vmcnt(0) lgkmcnt(0)
	v_mul_f64 v[4:5], v[10:11], v[2:3]
	v_mul_f64 v[2:3], v[8:9], v[2:3]
	v_fmac_f64_e32 v[4:5], v[8:9], v[0:1]
	v_fma_f64 v[2:3], v[0:1], v[10:11], -v[2:3]
	v_mul_f64 v[0:1], v[4:5], s[0:1]
	v_mul_f64 v[2:3], v[2:3], s[0:1]
	global_store_dwordx4 v[12:13], v[0:3], off
	global_load_dwordx4 v[0:3], v[16:17], off offset:3776
	ds_read_b128 v[4:7], v252 offset:20160
	ds_read_b128 v[8:11], v252 offset:21840
	v_mad_u64_u32 v[12:13], s[4:5], s8, v24, v[12:13]
	v_add_co_u32_e32 v16, vcc, s3, v14
	v_add_u32_e32 v13, s2, v13
	s_nop 0
	v_addc_co_u32_e32 v17, vcc, 0, v15, vcc
	s_movk_i32 s3, 0x6000
	v_add_co_u32_e32 v14, vcc, s3, v14
	s_waitcnt vmcnt(0) lgkmcnt(1)
	v_mul_f64 v[22:23], v[6:7], v[2:3]
	v_mul_f64 v[2:3], v[4:5], v[2:3]
	v_fmac_f64_e32 v[22:23], v[4:5], v[0:1]
	v_fma_f64 v[2:3], v[0:1], v[6:7], -v[2:3]
	v_mul_f64 v[0:1], v[22:23], s[0:1]
	v_mul_f64 v[2:3], v[2:3], s[0:1]
	global_store_dwordx4 v[12:13], v[0:3], off
	global_load_dwordx4 v[0:3], v[16:17], off offset:1360
	v_mad_u64_u32 v[12:13], s[4:5], s8, v24, v[12:13]
	v_add_u32_e32 v13, s2, v13
	v_addc_co_u32_e32 v15, vcc, 0, v15, vcc
	s_waitcnt vmcnt(0) lgkmcnt(0)
	v_mul_f64 v[4:5], v[10:11], v[2:3]
	v_mul_f64 v[2:3], v[8:9], v[2:3]
	v_fmac_f64_e32 v[4:5], v[8:9], v[0:1]
	v_fma_f64 v[2:3], v[0:1], v[10:11], -v[2:3]
	v_mul_f64 v[0:1], v[4:5], s[0:1]
	v_mul_f64 v[2:3], v[2:3], s[0:1]
	global_store_dwordx4 v[12:13], v[0:3], off
	global_load_dwordx4 v[0:3], v[16:17], off offset:3040
	ds_read_b128 v[4:7], v252 offset:23520
	ds_read_b128 v[8:11], v252 offset:25200
	v_mad_u64_u32 v[12:13], s[4:5], s8, v24, v[12:13]
	v_add_u32_e32 v13, s2, v13
	s_waitcnt vmcnt(0) lgkmcnt(1)
	v_mul_f64 v[16:17], v[6:7], v[2:3]
	v_mul_f64 v[2:3], v[4:5], v[2:3]
	v_fmac_f64_e32 v[16:17], v[4:5], v[0:1]
	v_fma_f64 v[2:3], v[0:1], v[6:7], -v[2:3]
	v_mul_f64 v[0:1], v[16:17], s[0:1]
	v_mul_f64 v[2:3], v[2:3], s[0:1]
	global_store_dwordx4 v[12:13], v[0:3], off
	global_load_dwordx4 v[0:3], v[14:15], off offset:624
	v_mad_u64_u32 v[4:5], s[4:5], s8, v24, v[12:13]
	v_add_u32_e32 v5, s2, v5
	s_waitcnt vmcnt(0) lgkmcnt(0)
	v_mul_f64 v[6:7], v[10:11], v[2:3]
	v_mul_f64 v[2:3], v[8:9], v[2:3]
	v_fmac_f64_e32 v[6:7], v[8:9], v[0:1]
	v_fma_f64 v[2:3], v[0:1], v[10:11], -v[2:3]
	v_mul_f64 v[0:1], v[6:7], s[0:1]
	v_mul_f64 v[2:3], v[2:3], s[0:1]
	global_store_dwordx4 v[4:5], v[0:3], off
	global_load_dwordx4 v[0:3], v[14:15], off offset:2304
	v_mad_u64_u32 v[4:5], s[4:5], s8, v24, v[4:5]
	v_add_u32_e32 v5, s2, v5
	s_waitcnt vmcnt(0)
	v_mul_f64 v[6:7], v[20:21], v[2:3]
	v_mul_f64 v[2:3], v[18:19], v[2:3]
	v_fmac_f64_e32 v[6:7], v[18:19], v[0:1]
	v_fma_f64 v[2:3], v[0:1], v[20:21], -v[2:3]
	v_mul_f64 v[0:1], v[6:7], s[0:1]
	v_mul_f64 v[2:3], v[2:3], s[0:1]
	global_store_dwordx4 v[4:5], v[0:3], off
.LBB0_23:
	s_endpgm
	.section	.rodata,"a",@progbits
	.p2align	6, 0x0
	.amdhsa_kernel bluestein_single_fwd_len1785_dim1_dp_op_CI_CI
		.amdhsa_group_segment_fixed_size 28560
		.amdhsa_private_segment_fixed_size 0
		.amdhsa_kernarg_size 104
		.amdhsa_user_sgpr_count 2
		.amdhsa_user_sgpr_dispatch_ptr 0
		.amdhsa_user_sgpr_queue_ptr 0
		.amdhsa_user_sgpr_kernarg_segment_ptr 1
		.amdhsa_user_sgpr_dispatch_id 0
		.amdhsa_user_sgpr_kernarg_preload_length 0
		.amdhsa_user_sgpr_kernarg_preload_offset 0
		.amdhsa_user_sgpr_private_segment_size 0
		.amdhsa_uses_dynamic_stack 0
		.amdhsa_enable_private_segment 0
		.amdhsa_system_sgpr_workgroup_id_x 1
		.amdhsa_system_sgpr_workgroup_id_y 0
		.amdhsa_system_sgpr_workgroup_id_z 0
		.amdhsa_system_sgpr_workgroup_info 0
		.amdhsa_system_vgpr_workitem_id 0
		.amdhsa_next_free_vgpr 464
		.amdhsa_next_free_sgpr 62
		.amdhsa_accum_offset 256
		.amdhsa_reserve_vcc 1
		.amdhsa_float_round_mode_32 0
		.amdhsa_float_round_mode_16_64 0
		.amdhsa_float_denorm_mode_32 3
		.amdhsa_float_denorm_mode_16_64 3
		.amdhsa_dx10_clamp 1
		.amdhsa_ieee_mode 1
		.amdhsa_fp16_overflow 0
		.amdhsa_tg_split 0
		.amdhsa_exception_fp_ieee_invalid_op 0
		.amdhsa_exception_fp_denorm_src 0
		.amdhsa_exception_fp_ieee_div_zero 0
		.amdhsa_exception_fp_ieee_overflow 0
		.amdhsa_exception_fp_ieee_underflow 0
		.amdhsa_exception_fp_ieee_inexact 0
		.amdhsa_exception_int_div_zero 0
	.end_amdhsa_kernel
	.text
.Lfunc_end0:
	.size	bluestein_single_fwd_len1785_dim1_dp_op_CI_CI, .Lfunc_end0-bluestein_single_fwd_len1785_dim1_dp_op_CI_CI
                                        ; -- End function
	.section	.AMDGPU.csdata,"",@progbits
; Kernel info:
; codeLenInByte = 32784
; NumSgprs: 68
; NumVgprs: 256
; NumAgprs: 208
; TotalNumVgprs: 464
; ScratchSize: 0
; MemoryBound: 0
; FloatMode: 240
; IeeeMode: 1
; LDSByteSize: 28560 bytes/workgroup (compile time only)
; SGPRBlocks: 8
; VGPRBlocks: 57
; NumSGPRsForWavesPerEU: 68
; NumVGPRsForWavesPerEU: 464
; AccumOffset: 256
; Occupancy: 1
; WaveLimiterHint : 1
; COMPUTE_PGM_RSRC2:SCRATCH_EN: 0
; COMPUTE_PGM_RSRC2:USER_SGPR: 2
; COMPUTE_PGM_RSRC2:TRAP_HANDLER: 0
; COMPUTE_PGM_RSRC2:TGID_X_EN: 1
; COMPUTE_PGM_RSRC2:TGID_Y_EN: 0
; COMPUTE_PGM_RSRC2:TGID_Z_EN: 0
; COMPUTE_PGM_RSRC2:TIDIG_COMP_CNT: 0
; COMPUTE_PGM_RSRC3_GFX90A:ACCUM_OFFSET: 63
; COMPUTE_PGM_RSRC3_GFX90A:TG_SPLIT: 0
	.text
	.p2alignl 6, 3212836864
	.fill 256, 4, 3212836864
	.type	__hip_cuid_46c521be1d94008,@object ; @__hip_cuid_46c521be1d94008
	.section	.bss,"aw",@nobits
	.globl	__hip_cuid_46c521be1d94008
__hip_cuid_46c521be1d94008:
	.byte	0                               ; 0x0
	.size	__hip_cuid_46c521be1d94008, 1

	.ident	"AMD clang version 19.0.0git (https://github.com/RadeonOpenCompute/llvm-project roc-6.4.0 25133 c7fe45cf4b819c5991fe208aaa96edf142730f1d)"
	.section	".note.GNU-stack","",@progbits
	.addrsig
	.addrsig_sym __hip_cuid_46c521be1d94008
	.amdgpu_metadata
---
amdhsa.kernels:
  - .agpr_count:     208
    .args:
      - .actual_access:  read_only
        .address_space:  global
        .offset:         0
        .size:           8
        .value_kind:     global_buffer
      - .actual_access:  read_only
        .address_space:  global
        .offset:         8
        .size:           8
        .value_kind:     global_buffer
      - .actual_access:  read_only
        .address_space:  global
        .offset:         16
        .size:           8
        .value_kind:     global_buffer
      - .actual_access:  read_only
        .address_space:  global
        .offset:         24
        .size:           8
        .value_kind:     global_buffer
      - .actual_access:  read_only
        .address_space:  global
        .offset:         32
        .size:           8
        .value_kind:     global_buffer
      - .offset:         40
        .size:           8
        .value_kind:     by_value
      - .address_space:  global
        .offset:         48
        .size:           8
        .value_kind:     global_buffer
      - .address_space:  global
        .offset:         56
        .size:           8
        .value_kind:     global_buffer
      - .address_space:  global
        .offset:         64
        .size:           8
        .value_kind:     global_buffer
      - .address_space:  global
        .offset:         72
        .size:           8
        .value_kind:     global_buffer
      - .offset:         80
        .size:           4
        .value_kind:     by_value
      - .address_space:  global
        .offset:         88
        .size:           8
        .value_kind:     global_buffer
      - .address_space:  global
        .offset:         96
        .size:           8
        .value_kind:     global_buffer
    .group_segment_fixed_size: 28560
    .kernarg_segment_align: 8
    .kernarg_segment_size: 104
    .language:       OpenCL C
    .language_version:
      - 2
      - 0
    .max_flat_workgroup_size: 119
    .name:           bluestein_single_fwd_len1785_dim1_dp_op_CI_CI
    .private_segment_fixed_size: 0
    .sgpr_count:     68
    .sgpr_spill_count: 0
    .symbol:         bluestein_single_fwd_len1785_dim1_dp_op_CI_CI.kd
    .uniform_work_group_size: 1
    .uses_dynamic_stack: false
    .vgpr_count:     464
    .vgpr_spill_count: 0
    .wavefront_size: 64
amdhsa.target:   amdgcn-amd-amdhsa--gfx950
amdhsa.version:
  - 1
  - 2
...

	.end_amdgpu_metadata
